;; amdgpu-corpus repo=ROCm/rocFFT kind=compiled arch=gfx906 opt=O3
	.text
	.amdgcn_target "amdgcn-amd-amdhsa--gfx906"
	.amdhsa_code_object_version 6
	.protected	fft_rtc_fwd_len432_factors_3_16_3_3_wgs_54_tpt_27_halfLds_dp_ip_CI_sbrr_dirReg ; -- Begin function fft_rtc_fwd_len432_factors_3_16_3_3_wgs_54_tpt_27_halfLds_dp_ip_CI_sbrr_dirReg
	.globl	fft_rtc_fwd_len432_factors_3_16_3_3_wgs_54_tpt_27_halfLds_dp_ip_CI_sbrr_dirReg
	.p2align	8
	.type	fft_rtc_fwd_len432_factors_3_16_3_3_wgs_54_tpt_27_halfLds_dp_ip_CI_sbrr_dirReg,@function
fft_rtc_fwd_len432_factors_3_16_3_3_wgs_54_tpt_27_halfLds_dp_ip_CI_sbrr_dirReg: ; @fft_rtc_fwd_len432_factors_3_16_3_3_wgs_54_tpt_27_halfLds_dp_ip_CI_sbrr_dirReg
; %bb.0:
	s_load_dwordx2 s[2:3], s[4:5], 0x18
	s_load_dwordx4 s[8:11], s[4:5], 0x0
	s_load_dwordx2 s[14:15], s[4:5], 0x50
	v_mul_u32_u24_e32 v1, 0x97c, v0
	v_lshrrev_b32_e32 v76, 16, v1
	s_waitcnt lgkmcnt(0)
	s_load_dwordx2 s[12:13], s[2:3], 0x0
	v_cmp_lt_u64_e64 s[0:1], s[10:11], 2
	v_mov_b32_e32 v3, 0
	v_mov_b32_e32 v1, 0
	v_lshl_add_u32 v5, s6, 1, v76
	v_mov_b32_e32 v6, v3
	s_and_b64 vcc, exec, s[0:1]
	v_mov_b32_e32 v2, 0
	s_cbranch_vccnz .LBB0_8
; %bb.1:
	s_load_dwordx2 s[0:1], s[4:5], 0x10
	s_add_u32 s6, s2, 8
	s_addc_u32 s7, s3, 0
	v_mov_b32_e32 v1, 0
	v_mov_b32_e32 v2, 0
	s_waitcnt lgkmcnt(0)
	s_add_u32 s16, s0, 8
	s_addc_u32 s17, s1, 0
	s_mov_b64 s[18:19], 1
.LBB0_2:                                ; =>This Inner Loop Header: Depth=1
	s_load_dwordx2 s[20:21], s[16:17], 0x0
                                        ; implicit-def: $vgpr7_vgpr8
	s_waitcnt lgkmcnt(0)
	v_or_b32_e32 v4, s21, v6
	v_cmp_ne_u64_e32 vcc, 0, v[3:4]
	s_and_saveexec_b64 s[0:1], vcc
	s_xor_b64 s[22:23], exec, s[0:1]
	s_cbranch_execz .LBB0_4
; %bb.3:                                ;   in Loop: Header=BB0_2 Depth=1
	v_cvt_f32_u32_e32 v4, s20
	v_cvt_f32_u32_e32 v7, s21
	s_sub_u32 s0, 0, s20
	s_subb_u32 s1, 0, s21
	v_mac_f32_e32 v4, 0x4f800000, v7
	v_rcp_f32_e32 v4, v4
	v_mul_f32_e32 v4, 0x5f7ffffc, v4
	v_mul_f32_e32 v7, 0x2f800000, v4
	v_trunc_f32_e32 v7, v7
	v_mac_f32_e32 v4, 0xcf800000, v7
	v_cvt_u32_f32_e32 v7, v7
	v_cvt_u32_f32_e32 v4, v4
	v_mul_lo_u32 v8, s0, v7
	v_mul_hi_u32 v9, s0, v4
	v_mul_lo_u32 v11, s1, v4
	v_mul_lo_u32 v10, s0, v4
	v_add_u32_e32 v8, v9, v8
	v_add_u32_e32 v8, v8, v11
	v_mul_hi_u32 v9, v4, v10
	v_mul_lo_u32 v11, v4, v8
	v_mul_hi_u32 v13, v4, v8
	v_mul_hi_u32 v12, v7, v10
	v_mul_lo_u32 v10, v7, v10
	v_mul_hi_u32 v14, v7, v8
	v_add_co_u32_e32 v9, vcc, v9, v11
	v_addc_co_u32_e32 v11, vcc, 0, v13, vcc
	v_mul_lo_u32 v8, v7, v8
	v_add_co_u32_e32 v9, vcc, v9, v10
	v_addc_co_u32_e32 v9, vcc, v11, v12, vcc
	v_addc_co_u32_e32 v10, vcc, 0, v14, vcc
	v_add_co_u32_e32 v8, vcc, v9, v8
	v_addc_co_u32_e32 v9, vcc, 0, v10, vcc
	v_add_co_u32_e32 v4, vcc, v4, v8
	v_addc_co_u32_e32 v7, vcc, v7, v9, vcc
	v_mul_lo_u32 v8, s0, v7
	v_mul_hi_u32 v9, s0, v4
	v_mul_lo_u32 v10, s1, v4
	v_mul_lo_u32 v11, s0, v4
	v_add_u32_e32 v8, v9, v8
	v_add_u32_e32 v8, v8, v10
	v_mul_lo_u32 v12, v4, v8
	v_mul_hi_u32 v13, v4, v11
	v_mul_hi_u32 v14, v4, v8
	v_mul_hi_u32 v10, v7, v11
	v_mul_lo_u32 v11, v7, v11
	v_mul_hi_u32 v9, v7, v8
	v_add_co_u32_e32 v12, vcc, v13, v12
	v_addc_co_u32_e32 v13, vcc, 0, v14, vcc
	v_mul_lo_u32 v8, v7, v8
	v_add_co_u32_e32 v11, vcc, v12, v11
	v_addc_co_u32_e32 v10, vcc, v13, v10, vcc
	v_addc_co_u32_e32 v9, vcc, 0, v9, vcc
	v_add_co_u32_e32 v8, vcc, v10, v8
	v_addc_co_u32_e32 v9, vcc, 0, v9, vcc
	v_add_co_u32_e32 v4, vcc, v4, v8
	v_addc_co_u32_e32 v9, vcc, v7, v9, vcc
	v_mad_u64_u32 v[7:8], s[0:1], v5, v9, 0
	v_mul_hi_u32 v10, v5, v4
	v_add_co_u32_e32 v11, vcc, v10, v7
	v_addc_co_u32_e32 v12, vcc, 0, v8, vcc
	v_mad_u64_u32 v[7:8], s[0:1], v6, v4, 0
	v_mad_u64_u32 v[9:10], s[0:1], v6, v9, 0
	v_add_co_u32_e32 v4, vcc, v11, v7
	v_addc_co_u32_e32 v4, vcc, v12, v8, vcc
	v_addc_co_u32_e32 v7, vcc, 0, v10, vcc
	v_add_co_u32_e32 v4, vcc, v4, v9
	v_addc_co_u32_e32 v9, vcc, 0, v7, vcc
	v_mul_lo_u32 v10, s21, v4
	v_mul_lo_u32 v11, s20, v9
	v_mad_u64_u32 v[7:8], s[0:1], s20, v4, 0
	v_add3_u32 v8, v8, v11, v10
	v_sub_u32_e32 v10, v6, v8
	v_mov_b32_e32 v11, s21
	v_sub_co_u32_e32 v7, vcc, v5, v7
	v_subb_co_u32_e64 v10, s[0:1], v10, v11, vcc
	v_subrev_co_u32_e64 v11, s[0:1], s20, v7
	v_subbrev_co_u32_e64 v10, s[0:1], 0, v10, s[0:1]
	v_cmp_le_u32_e64 s[0:1], s21, v10
	v_cndmask_b32_e64 v12, 0, -1, s[0:1]
	v_cmp_le_u32_e64 s[0:1], s20, v11
	v_cndmask_b32_e64 v11, 0, -1, s[0:1]
	v_cmp_eq_u32_e64 s[0:1], s21, v10
	v_cndmask_b32_e64 v10, v12, v11, s[0:1]
	v_add_co_u32_e64 v11, s[0:1], 2, v4
	v_addc_co_u32_e64 v12, s[0:1], 0, v9, s[0:1]
	v_add_co_u32_e64 v13, s[0:1], 1, v4
	v_addc_co_u32_e64 v14, s[0:1], 0, v9, s[0:1]
	v_subb_co_u32_e32 v8, vcc, v6, v8, vcc
	v_cmp_ne_u32_e64 s[0:1], 0, v10
	v_cmp_le_u32_e32 vcc, s21, v8
	v_cndmask_b32_e64 v10, v14, v12, s[0:1]
	v_cndmask_b32_e64 v12, 0, -1, vcc
	v_cmp_le_u32_e32 vcc, s20, v7
	v_cndmask_b32_e64 v7, 0, -1, vcc
	v_cmp_eq_u32_e32 vcc, s21, v8
	v_cndmask_b32_e32 v7, v12, v7, vcc
	v_cmp_ne_u32_e32 vcc, 0, v7
	v_cndmask_b32_e64 v7, v13, v11, s[0:1]
	v_cndmask_b32_e32 v8, v9, v10, vcc
	v_cndmask_b32_e32 v7, v4, v7, vcc
.LBB0_4:                                ;   in Loop: Header=BB0_2 Depth=1
	s_andn2_saveexec_b64 s[0:1], s[22:23]
	s_cbranch_execz .LBB0_6
; %bb.5:                                ;   in Loop: Header=BB0_2 Depth=1
	v_cvt_f32_u32_e32 v4, s20
	s_sub_i32 s22, 0, s20
	v_rcp_iflag_f32_e32 v4, v4
	v_mul_f32_e32 v4, 0x4f7ffffe, v4
	v_cvt_u32_f32_e32 v4, v4
	v_mul_lo_u32 v7, s22, v4
	v_mul_hi_u32 v7, v4, v7
	v_add_u32_e32 v4, v4, v7
	v_mul_hi_u32 v4, v5, v4
	v_mul_lo_u32 v7, v4, s20
	v_add_u32_e32 v8, 1, v4
	v_sub_u32_e32 v7, v5, v7
	v_subrev_u32_e32 v9, s20, v7
	v_cmp_le_u32_e32 vcc, s20, v7
	v_cndmask_b32_e32 v7, v7, v9, vcc
	v_cndmask_b32_e32 v4, v4, v8, vcc
	v_add_u32_e32 v8, 1, v4
	v_cmp_le_u32_e32 vcc, s20, v7
	v_cndmask_b32_e32 v7, v4, v8, vcc
	v_mov_b32_e32 v8, v3
.LBB0_6:                                ;   in Loop: Header=BB0_2 Depth=1
	s_or_b64 exec, exec, s[0:1]
	v_mul_lo_u32 v4, v8, s20
	v_mul_lo_u32 v11, v7, s21
	v_mad_u64_u32 v[9:10], s[0:1], v7, s20, 0
	s_load_dwordx2 s[0:1], s[6:7], 0x0
	s_add_u32 s18, s18, 1
	v_add3_u32 v4, v10, v11, v4
	v_sub_co_u32_e32 v5, vcc, v5, v9
	v_subb_co_u32_e32 v4, vcc, v6, v4, vcc
	s_waitcnt lgkmcnt(0)
	v_mul_lo_u32 v4, s0, v4
	v_mul_lo_u32 v6, s1, v5
	v_mad_u64_u32 v[1:2], s[0:1], s0, v5, v[1:2]
	s_addc_u32 s19, s19, 0
	s_add_u32 s6, s6, 8
	v_add3_u32 v2, v6, v2, v4
	v_mov_b32_e32 v4, s10
	v_mov_b32_e32 v5, s11
	s_addc_u32 s7, s7, 0
	v_cmp_ge_u64_e32 vcc, s[18:19], v[4:5]
	s_add_u32 s16, s16, 8
	s_addc_u32 s17, s17, 0
	s_cbranch_vccnz .LBB0_9
; %bb.7:                                ;   in Loop: Header=BB0_2 Depth=1
	v_mov_b32_e32 v5, v7
	v_mov_b32_e32 v6, v8
	s_branch .LBB0_2
.LBB0_8:
	v_mov_b32_e32 v8, v6
	v_mov_b32_e32 v7, v5
.LBB0_9:
	s_lshl_b64 s[0:1], s[10:11], 3
	s_add_u32 s0, s2, s0
	s_addc_u32 s1, s3, s1
	s_load_dwordx2 s[2:3], s[0:1], 0x0
	s_load_dwordx2 s[6:7], s[4:5], 0x20
                                        ; implicit-def: $vgpr108
                                        ; implicit-def: $vgpr109
                                        ; implicit-def: $vgpr106
                                        ; implicit-def: $vgpr107
	s_waitcnt lgkmcnt(0)
	v_mad_u64_u32 v[1:2], s[0:1], s2, v7, v[1:2]
	s_mov_b32 s0, 0x97b425f
	v_mul_lo_u32 v3, s2, v8
	v_mul_lo_u32 v4, s3, v7
	v_mul_hi_u32 v5, v0, s0
	v_cmp_gt_u64_e64 s[0:1], s[6:7], v[7:8]
	v_cmp_le_u64_e32 vcc, s[6:7], v[7:8]
	v_add3_u32 v2, v4, v2, v3
	v_mul_u32_u24_e32 v3, 27, v5
	v_sub_u32_e32 v102, v0, v3
	v_add_u32_e32 v104, 27, v102
	v_add_u32_e32 v103, 54, v102
	s_and_saveexec_b64 s[2:3], vcc
	s_xor_b64 s[2:3], exec, s[2:3]
; %bb.10:
	v_add_u32_e32 v108, 27, v102
	v_add_u32_e32 v109, 54, v102
	;; [unrolled: 1-line block ×4, first 2 shown]
; %bb.11:
	s_or_saveexec_b64 s[2:3], s[2:3]
	v_lshlrev_b64 v[74:75], 4, v[1:2]
                                        ; implicit-def: $vgpr56_vgpr57
                                        ; implicit-def: $vgpr44_vgpr45
                                        ; implicit-def: $vgpr52_vgpr53
                                        ; implicit-def: $vgpr72_vgpr73
                                        ; implicit-def: $vgpr48_vgpr49
                                        ; implicit-def: $vgpr64_vgpr65
                                        ; implicit-def: $vgpr32_vgpr33
                                        ; implicit-def: $vgpr24_vgpr25
                                        ; implicit-def: $vgpr2_vgpr3
                                        ; implicit-def: $vgpr8_vgpr9
                                        ; implicit-def: $vgpr28_vgpr29
                                        ; implicit-def: $vgpr16_vgpr17
                                        ; implicit-def: $vgpr40_vgpr41
                                        ; implicit-def: $vgpr20_vgpr21
                                        ; implicit-def: $vgpr12_vgpr13
                                        ; implicit-def: $vgpr36_vgpr37
                                        ; implicit-def: $vgpr60_vgpr61
                                        ; implicit-def: $vgpr68_vgpr69
	s_xor_b64 exec, exec, s[2:3]
	s_cbranch_execz .LBB0_15
; %bb.12:
	v_mad_u64_u32 v[0:1], s[4:5], s12, v102, 0
	v_add_u32_e32 v6, 0x90, v102
	v_add_co_u32_e32 v4, vcc, s14, v74
	v_mad_u64_u32 v[1:2], s[4:5], s13, v102, v[1:2]
	v_mad_u64_u32 v[2:3], s[4:5], s12, v6, 0
	v_or_b32_e32 v9, 0x120, v102
	v_mov_b32_e32 v5, s15
	v_mad_u64_u32 v[6:7], s[4:5], s13, v6, v[3:4]
	v_mad_u64_u32 v[7:8], s[4:5], s12, v9, 0
	v_lshlrev_b64 v[0:1], 4, v[0:1]
	v_addc_co_u32_e32 v5, vcc, v5, v75, vcc
	v_add_co_u32_e32 v10, vcc, v4, v0
	v_mov_b32_e32 v3, v6
	v_addc_co_u32_e32 v11, vcc, v5, v1, vcc
	v_lshlrev_b64 v[0:1], 4, v[2:3]
	v_mov_b32_e32 v2, v8
	v_mad_u64_u32 v[2:3], s[4:5], s13, v9, v[2:3]
	v_mad_u64_u32 v[12:13], s[4:5], s12, v104, 0
	v_mov_b32_e32 v8, v2
	v_add_co_u32_e32 v18, vcc, v4, v0
	v_mov_b32_e32 v2, v13
	v_mad_u64_u32 v[2:3], s[4:5], s13, v104, v[2:3]
	v_add_u32_e32 v3, 0xab, v102
	v_addc_co_u32_e32 v19, vcc, v5, v1, vcc
	v_lshlrev_b64 v[0:1], 4, v[7:8]
	v_mad_u64_u32 v[6:7], s[4:5], s12, v3, 0
	v_mov_b32_e32 v13, v2
	v_add_co_u32_e32 v20, vcc, v4, v0
	v_mov_b32_e32 v2, v7
	v_mad_u64_u32 v[2:3], s[4:5], s13, v3, v[2:3]
	v_add_u32_e32 v3, 0x13b, v102
	v_mad_u64_u32 v[8:9], s[4:5], s12, v3, 0
	v_addc_co_u32_e32 v21, vcc, v5, v1, vcc
	v_lshlrev_b64 v[0:1], 4, v[12:13]
	v_mov_b32_e32 v7, v2
	v_add_co_u32_e32 v12, vcc, v4, v0
	v_mov_b32_e32 v2, v9
	v_addc_co_u32_e32 v13, vcc, v5, v1, vcc
	v_lshlrev_b64 v[0:1], 4, v[6:7]
	v_mad_u64_u32 v[2:3], s[4:5], s13, v3, v[2:3]
	v_mad_u64_u32 v[6:7], s[4:5], s12, v103, 0
	v_mov_b32_e32 v9, v2
	v_add_co_u32_e32 v38, vcc, v4, v0
	v_mov_b32_e32 v2, v7
	v_mad_u64_u32 v[2:3], s[4:5], s13, v103, v[2:3]
	v_add_u32_e32 v3, 0xc6, v102
	v_addc_co_u32_e32 v39, vcc, v5, v1, vcc
	v_lshlrev_b64 v[0:1], 4, v[8:9]
	v_mad_u64_u32 v[8:9], s[4:5], s12, v3, 0
	v_mov_b32_e32 v7, v2
	v_add_co_u32_e32 v40, vcc, v4, v0
	v_mov_b32_e32 v2, v9
	v_mad_u64_u32 v[2:3], s[4:5], s13, v3, v[2:3]
	v_add_u32_e32 v3, 0x156, v102
	v_addc_co_u32_e32 v41, vcc, v5, v1, vcc
	v_lshlrev_b64 v[0:1], 4, v[6:7]
	v_mad_u64_u32 v[6:7], s[4:5], s12, v3, 0
	v_add_co_u32_e32 v77, vcc, v4, v0
	v_mov_b32_e32 v9, v2
	v_mov_b32_e32 v2, v7
	v_add_u32_e32 v106, 0x51, v102
	v_addc_co_u32_e32 v78, vcc, v5, v1, vcc
	v_lshlrev_b64 v[0:1], 4, v[8:9]
	v_mad_u64_u32 v[2:3], s[4:5], s13, v3, v[2:3]
	v_mad_u64_u32 v[8:9], s[4:5], s12, v106, 0
	v_mov_b32_e32 v7, v2
	v_add_co_u32_e32 v79, vcc, v4, v0
	v_mov_b32_e32 v2, v9
	v_mad_u64_u32 v[2:3], s[4:5], s13, v106, v[2:3]
	v_add_u32_e32 v3, 0xe1, v102
	v_addc_co_u32_e32 v80, vcc, v5, v1, vcc
	v_lshlrev_b64 v[0:1], 4, v[6:7]
	v_mad_u64_u32 v[6:7], s[4:5], s12, v3, 0
	v_mov_b32_e32 v9, v2
	v_add_co_u32_e32 v81, vcc, v4, v0
	v_mov_b32_e32 v2, v7
	v_mad_u64_u32 v[2:3], s[4:5], s13, v3, v[2:3]
	v_add_u32_e32 v3, 0x171, v102
	v_addc_co_u32_e32 v82, vcc, v5, v1, vcc
	v_lshlrev_b64 v[0:1], 4, v[8:9]
	v_mad_u64_u32 v[8:9], s[4:5], s12, v3, 0
	v_add_co_u32_e32 v83, vcc, v4, v0
	v_mov_b32_e32 v7, v2
	v_mov_b32_e32 v2, v9
	v_add_u32_e32 v107, 0x6c, v102
	v_addc_co_u32_e32 v84, vcc, v5, v1, vcc
	v_lshlrev_b64 v[0:1], 4, v[6:7]
	v_mad_u64_u32 v[2:3], s[4:5], s13, v3, v[2:3]
	v_mad_u64_u32 v[6:7], s[4:5], s12, v107, 0
	v_mov_b32_e32 v9, v2
	v_add_co_u32_e32 v85, vcc, v4, v0
	v_mov_b32_e32 v2, v7
	v_mad_u64_u32 v[2:3], s[4:5], s13, v107, v[2:3]
	v_add_u32_e32 v3, 0xfc, v102
	v_addc_co_u32_e32 v86, vcc, v5, v1, vcc
	v_lshlrev_b64 v[0:1], 4, v[8:9]
	v_mad_u64_u32 v[8:9], s[4:5], s12, v3, 0
	v_mov_b32_e32 v7, v2
	v_add_co_u32_e32 v87, vcc, v4, v0
	v_mov_b32_e32 v2, v9
	v_mad_u64_u32 v[2:3], s[4:5], s13, v3, v[2:3]
	v_add_u32_e32 v3, 0x18c, v102
	v_addc_co_u32_e32 v88, vcc, v5, v1, vcc
	v_lshlrev_b64 v[0:1], 4, v[6:7]
	v_mad_u64_u32 v[6:7], s[4:5], s12, v3, 0
	v_mov_b32_e32 v9, v2
	v_add_co_u32_e32 v89, vcc, v4, v0
	v_mov_b32_e32 v2, v7
	v_mad_u64_u32 v[2:3], s[4:5], s13, v3, v[2:3]
	v_addc_co_u32_e32 v90, vcc, v5, v1, vcc
	v_lshlrev_b64 v[0:1], 4, v[8:9]
	v_mov_b32_e32 v7, v2
	v_add_co_u32_e32 v91, vcc, v4, v0
	v_addc_co_u32_e32 v92, vcc, v5, v1, vcc
	v_lshlrev_b64 v[0:1], 4, v[6:7]
	v_add_co_u32_e32 v93, vcc, v4, v0
	v_addc_co_u32_e32 v94, vcc, v5, v1, vcc
	global_load_dwordx4 v[66:69], v[10:11], off
	global_load_dwordx4 v[54:57], v[18:19], off
	;; [unrolled: 1-line block ×15, first 2 shown]
	v_cmp_gt_u32_e32 vcc, 9, v102
                                        ; implicit-def: $vgpr10_vgpr11
                                        ; implicit-def: $vgpr18_vgpr19
                                        ; implicit-def: $vgpr38_vgpr39
	s_and_saveexec_b64 s[4:5], vcc
	s_cbranch_execz .LBB0_14
; %bb.13:
	v_add_u32_e32 v18, 0x87, v102
	v_add_u32_e32 v20, 0x117, v102
	v_mad_u64_u32 v[10:11], s[6:7], s12, v18, 0
	v_mad_u64_u32 v[12:13], s[6:7], s12, v20, 0
	;; [unrolled: 1-line block ×3, first 2 shown]
	v_mov_b32_e32 v11, v18
	s_waitcnt vmcnt(0)
	v_mad_u64_u32 v[18:19], s[6:7], s13, v20, v[13:14]
	v_add_u32_e32 v19, 0x1a7, v102
	v_mad_u64_u32 v[38:39], s[6:7], s12, v19, 0
	v_lshlrev_b64 v[10:11], 4, v[10:11]
	v_mov_b32_e32 v13, v18
	v_add_co_u32_e32 v40, vcc, v4, v10
	v_addc_co_u32_e32 v41, vcc, v5, v11, vcc
	v_lshlrev_b64 v[10:11], 4, v[12:13]
	v_mov_b32_e32 v12, v39
	v_mad_u64_u32 v[77:78], s[6:7], s13, v19, v[12:13]
	v_add_co_u32_e32 v78, vcc, v4, v10
	v_mov_b32_e32 v39, v77
	v_lshlrev_b64 v[38:39], 4, v[38:39]
	v_addc_co_u32_e32 v79, vcc, v5, v11, vcc
	v_add_co_u32_e32 v4, vcc, v4, v38
	v_addc_co_u32_e32 v5, vcc, v5, v39, vcc
	global_load_dwordx4 v[10:13], v[40:41], off
	global_load_dwordx4 v[18:21], v[78:79], off
	s_nop 0
	global_load_dwordx4 v[38:41], v[4:5], off
.LBB0_14:
	s_or_b64 exec, exec, s[4:5]
	v_mov_b32_e32 v109, v103
	v_mov_b32_e32 v108, v104
.LBB0_15:
	s_or_b64 exec, exec, s[2:3]
	s_waitcnt vmcnt(12)
	v_add_f64 v[78:79], v[54:55], v[42:43]
	v_add_f64 v[4:5], v[54:55], v[66:67]
	s_waitcnt vmcnt(9)
	v_add_f64 v[80:81], v[70:71], v[46:47]
	v_add_f64 v[84:85], v[56:57], -v[44:45]
	v_add_f64 v[86:87], v[50:51], v[70:71]
	s_waitcnt vmcnt(6)
	v_add_f64 v[88:89], v[62:63], v[30:31]
	s_mov_b32 s2, 0xe8584caa
	s_mov_b32 s3, 0x3febb67a
	v_fma_f64 v[82:83], v[78:79], -0.5, v[66:67]
	s_mov_b32 s5, 0xbfebb67a
	s_mov_b32 s4, s2
	v_add_f64 v[4:5], v[42:43], v[4:5]
	v_fma_f64 v[50:51], v[80:81], -0.5, v[50:51]
	v_add_f64 v[79:80], v[72:73], -v[48:49]
	v_add_f64 v[92:93], v[62:63], v[58:59]
	v_add_f64 v[94:95], v[64:65], -v[32:33]
	v_fma_f64 v[90:91], v[84:85], s[2:3], v[82:83]
	v_fma_f64 v[81:82], v[84:85], s[4:5], v[82:83]
	v_add_f64 v[83:84], v[86:87], v[46:47]
	v_fma_f64 v[87:88], v[88:89], -0.5, v[58:59]
	v_and_b32_e32 v76, 1, v76
	v_mov_b32_e32 v77, 0x1b0
	v_cmp_eq_u32_e32 vcc, 1, v76
	v_cndmask_b32_e32 v77, 0, v77, vcc
	v_mad_u32_u24 v78, v102, 24, 0
	v_lshlrev_b32_e32 v110, 3, v77
	v_add_u32_e32 v66, v78, v110
	v_fma_f64 v[85:86], v[79:80], s[2:3], v[50:51]
	v_fma_f64 v[50:51], v[79:80], s[4:5], v[50:51]
	ds_write2_b64 v66, v[4:5], v[90:91] offset1:1
	ds_write_b64 v66, v[81:82] offset:16
	v_add_f64 v[79:80], v[30:31], v[92:93]
	v_fma_f64 v[81:82], v[94:95], s[2:3], v[87:88]
	v_mad_i32_i24 v4, v108, 24, 0
	v_mad_i32_i24 v5, v109, 24, 0
	v_add_u32_e32 v58, v4, v110
	v_add_u32_e32 v59, v5, v110
	ds_write2_b64 v58, v[83:84], v[85:86] offset1:1
	ds_write_b64 v58, v[50:51] offset:16
	v_fma_f64 v[50:51], v[94:95], s[4:5], v[87:88]
	s_waitcnt vmcnt(3)
	v_add_f64 v[83:84], v[22:23], v[0:1]
	v_add_f64 v[85:86], v[22:23], v[34:35]
	s_waitcnt vmcnt(0)
	v_add_f64 v[87:88], v[26:27], v[14:15]
	ds_write2_b64 v59, v[79:80], v[81:82] offset1:1
	v_add_f64 v[79:80], v[38:39], v[18:19]
	v_add_f64 v[81:82], v[24:25], -v[2:3]
	v_add_f64 v[89:90], v[20:21], -v[40:41]
	ds_write_b64 v59, v[50:51] offset:16
	v_fma_f64 v[50:51], v[83:84], -0.5, v[34:35]
	v_add_f64 v[83:84], v[0:1], v[85:86]
	v_add_f64 v[85:86], v[6:7], v[26:27]
	v_fma_f64 v[6:7], v[87:88], -0.5, v[6:7]
	v_add_f64 v[87:88], v[28:29], -v[16:17]
	v_fma_f64 v[79:80], v[79:80], -0.5, v[10:11]
	v_mad_i32_i24 v34, v106, 24, 0
	v_mad_i32_i24 v35, v107, 24, 0
	v_fma_f64 v[91:92], v[81:82], s[2:3], v[50:51]
	v_fma_f64 v[81:82], v[81:82], s[4:5], v[50:51]
	v_add_f64 v[85:86], v[85:86], v[14:15]
	v_add_u32_e32 v67, v34, v110
	v_fma_f64 v[93:94], v[87:88], s[2:3], v[6:7]
	v_fma_f64 v[87:88], v[87:88], s[4:5], v[6:7]
	;; [unrolled: 1-line block ×4, first 2 shown]
	v_add_u32_e32 v76, v35, v110
	v_cmp_gt_u32_e32 vcc, 9, v102
	ds_write2_b64 v67, v[83:84], v[91:92] offset1:1
	ds_write_b64 v67, v[81:82] offset:16
	ds_write2_b64 v76, v[85:86], v[93:94] offset1:1
	ds_write_b64 v76, v[87:88] offset:16
	s_and_saveexec_b64 s[6:7], vcc
	s_cbranch_execz .LBB0_17
; %bb.16:
	v_add_f64 v[10:11], v[18:19], v[10:11]
	v_lshl_add_u32 v77, v77, 3, v78
	v_add_u32_e32 v78, 0xca8, v77
	v_add_f64 v[10:11], v[38:39], v[10:11]
	ds_write2_b64 v78, v[10:11], v[6:7] offset1:1
	ds_write_b64 v77, v[50:51] offset:3256
.LBB0_17:
	s_or_b64 exec, exec, s[6:7]
	v_add_f64 v[10:11], v[56:57], v[44:45]
	v_add_f64 v[56:57], v[56:57], v[68:69]
	v_add_f64 v[42:43], v[54:55], -v[42:43]
	v_add_f64 v[46:47], v[70:71], -v[46:47]
	v_add_f64 v[70:71], v[64:65], v[32:33]
	v_add_f64 v[64:65], v[64:65], v[60:61]
	;; [unrolled: 1-line block ×3, first 2 shown]
	v_add_f64 v[30:31], v[62:63], -v[30:31]
	v_fma_f64 v[10:11], v[10:11], -0.5, v[68:69]
	v_add_f64 v[56:57], v[44:45], v[56:57]
	v_add_f64 v[62:63], v[24:25], v[2:3]
	v_add_f64 v[0:1], v[22:23], -v[0:1]
	v_fma_f64 v[44:45], v[70:71], -0.5, v[60:61]
	v_add_f64 v[64:65], v[32:33], v[64:65]
	v_add_f64 v[32:33], v[40:41], v[20:21]
	;; [unrolled: 1-line block ×3, first 2 shown]
	v_fma_f64 v[60:61], v[42:43], s[4:5], v[10:11]
	v_fma_f64 v[68:69], v[42:43], s[2:3], v[10:11]
	v_add_f64 v[10:11], v[28:29], v[16:17]
	v_add_f64 v[54:55], v[52:53], v[72:73]
	v_fma_f64 v[52:53], v[77:78], -0.5, v[52:53]
	v_add_f64 v[24:25], v[24:25], v[36:37]
	v_add_f64 v[18:19], v[18:19], -v[38:39]
	v_fma_f64 v[36:37], v[62:63], -0.5, v[36:37]
	v_fma_f64 v[72:73], v[30:31], s[4:5], v[44:45]
	v_fma_f64 v[62:63], v[30:31], s[2:3], v[44:45]
	v_fma_f64 v[8:9], v[10:11], -0.5, v[8:9]
	v_add_f64 v[10:11], v[26:27], -v[14:15]
	v_fma_f64 v[14:15], v[32:33], -0.5, v[12:13]
	v_add_f64 v[54:55], v[54:55], v[48:49]
	v_fma_f64 v[70:71], v[46:47], s[4:5], v[52:53]
	v_fma_f64 v[46:47], v[46:47], s[2:3], v[52:53]
	v_add_f64 v[77:78], v[2:3], v[24:25]
	v_fma_f64 v[79:80], v[0:1], s[4:5], v[36:37]
	v_fma_f64 v[0:1], v[0:1], s[2:3], v[36:37]
	;; [unrolled: 1-line block ×4, first 2 shown]
	v_lshlrev_b32_e32 v9, 4, v108
	v_sub_u32_e32 v4, v4, v9
	v_lshlrev_b32_e32 v8, 3, v102
	v_add_u32_e32 v112, v4, v110
	v_lshlrev_b32_e32 v4, 4, v109
	v_add3_u32 v111, 0, v110, v8
	v_sub_u32_e32 v4, v5, v4
	v_add_u32_e32 v8, 0, v8
	v_add_u32_e32 v114, v4, v110
	v_lshlrev_b32_e32 v4, 4, v106
	v_lshlrev_b32_e32 v9, 4, v107
	v_add_u32_e32 v113, v8, v110
	v_fma_f64 v[2:3], v[18:19], s[4:5], v[14:15]
	v_fma_f64 v[48:49], v[18:19], s[2:3], v[14:15]
	v_sub_u32_e32 v4, v34, v4
	v_sub_u32_e32 v9, v35, v9
	v_add_u32_e32 v53, 0x400, v113
	v_add_u32_e32 v52, 0x800, v113
	v_add_f64 v[81:82], v[22:23], v[16:17]
	s_waitcnt lgkmcnt(0)
	; wave barrier
	s_waitcnt lgkmcnt(0)
	v_add_u32_e32 v115, v4, v110
	ds_read_b64 v[4:5], v111
	ds_read_b64 v[42:43], v112
	;; [unrolled: 1-line block ×4, first 2 shown]
	v_add_u32_e32 v116, v9, v110
	ds_read2_b64 v[34:37], v113 offset0:135 offset1:162
	ds_read2_b64 v[8:11], v113 offset0:189 offset1:216
	ds_read2_b64 v[30:33], v53 offset0:115 offset1:142
	ds_read2_b64 v[26:29], v52 offset0:41 offset1:68
	ds_read2_b64 v[22:25], v52 offset0:95 offset1:122
	ds_read_b64 v[44:45], v116
	ds_read_b64 v[38:39], v113 offset:3240
	v_add_u32_e32 v105, 0x87, v102
	s_waitcnt lgkmcnt(0)
	; wave barrier
	s_waitcnt lgkmcnt(0)
	ds_write2_b64 v66, v[56:57], v[60:61] offset1:1
	ds_write_b64 v66, v[68:69] offset:16
	ds_write2_b64 v58, v[54:55], v[70:71] offset1:1
	ds_write_b64 v58, v[46:47] offset:16
	;; [unrolled: 2-line block ×5, first 2 shown]
	s_and_saveexec_b64 s[2:3], vcc
	s_cbranch_execz .LBB0_19
; %bb.18:
	v_add_f64 v[0:1], v[20:21], v[12:13]
	v_mul_u32_u24_e32 v12, 24, v105
	v_add3_u32 v12, 0, v12, v110
	v_add_f64 v[0:1], v[40:41], v[0:1]
	ds_write2_b64 v12, v[0:1], v[2:3] offset1:1
	ds_write_b64 v12, v[48:49] offset:16
.LBB0_19:
	s_or_b64 exec, exec, s[2:3]
	s_movk_i32 s2, 0xab
	v_mul_lo_u16_sdwa v20, v102, s2 dst_sel:DWORD dst_unused:UNUSED_PAD src0_sel:BYTE_0 src1_sel:DWORD
	v_lshrrev_b16_e32 v20, 9, v20
	v_mul_lo_u16_e32 v21, 3, v20
	v_sub_u16_e32 v21, v102, v21
	v_mov_b32_e32 v70, 15
	v_mul_u32_u24_sdwa v70, v21, v70 dst_sel:DWORD dst_unused:UNUSED_PAD src0_sel:BYTE_0 src1_sel:DWORD
	v_lshlrev_b32_e32 v119, 4, v70
	s_waitcnt lgkmcnt(0)
	; wave barrier
	s_waitcnt lgkmcnt(0)
	ds_read_b64 v[0:1], v111
	ds_read_b64 v[40:41], v112
	;; [unrolled: 1-line block ×5, first 2 shown]
	ds_read2_b64 v[54:57], v113 offset0:135 offset1:162
	ds_read2_b64 v[12:15], v113 offset0:189 offset1:216
	;; [unrolled: 1-line block ×5, first 2 shown]
	ds_read_b64 v[92:93], v113 offset:3240
	global_load_dwordx4 v[70:73], v119, s[8:9] offset:48
	global_load_dwordx4 v[76:79], v119, s[8:9] offset:32
	global_load_dwordx4 v[80:83], v119, s[8:9] offset:16
	global_load_dwordx4 v[84:87], v119, s[8:9]
	s_mov_b32 s10, 0x667f3bcd
	s_mov_b32 s11, 0x3fe6a09e
	;; [unrolled: 1-line block ×10, first 2 shown]
	v_mul_u32_u24_e32 v20, 48, v20
	v_or_b32_sdwa v20, v20, v21 dst_sel:DWORD dst_unused:UNUSED_PAD src0_sel:DWORD src1_sel:BYTE_0
	v_lshlrev_b32_e32 v20, 3, v20
	s_waitcnt vmcnt(0) lgkmcnt(9)
	v_mul_f64 v[94:95], v[40:41], v[86:87]
	v_fma_f64 v[94:95], v[42:43], v[84:85], -v[94:95]
	v_mul_f64 v[42:43], v[42:43], v[86:87]
	v_fma_f64 v[84:85], v[40:41], v[84:85], v[42:43]
	s_waitcnt lgkmcnt(8)
	v_mul_f64 v[40:41], v[46:47], v[82:83]
	v_fma_f64 v[86:87], v[18:19], v[80:81], -v[40:41]
	v_mul_f64 v[18:19], v[18:19], v[82:83]
	v_fma_f64 v[46:47], v[46:47], v[80:81], v[18:19]
	s_waitcnt lgkmcnt(7)
	;; [unrolled: 5-line block ×3, first 2 shown]
	v_mul_f64 v[16:17], v[90:91], v[72:73]
	v_fma_f64 v[88:89], v[44:45], v[70:71], -v[16:17]
	v_mul_f64 v[16:17], v[44:45], v[72:73]
	v_fma_f64 v[40:41], v[90:91], v[70:71], v[16:17]
	global_load_dwordx4 v[16:19], v119, s[8:9] offset:112
	global_load_dwordx4 v[42:45], v119, s[8:9] offset:96
	;; [unrolled: 1-line block ×4, first 2 shown]
	s_waitcnt vmcnt(0) lgkmcnt(5)
	v_mul_f64 v[90:91], v[54:55], v[78:79]
	v_fma_f64 v[90:91], v[34:35], v[76:77], -v[90:91]
	v_mul_f64 v[34:35], v[34:35], v[78:79]
	v_fma_f64 v[76:77], v[54:55], v[76:77], v[34:35]
	v_mul_f64 v[34:35], v[56:57], v[72:73]
	v_fma_f64 v[78:79], v[36:37], v[70:71], -v[34:35]
	v_mul_f64 v[34:35], v[36:37], v[72:73]
	v_fma_f64 v[96:97], v[56:57], v[70:71], v[34:35]
	s_waitcnt lgkmcnt(4)
	v_mul_f64 v[34:35], v[12:13], v[44:45]
	v_fma_f64 v[98:99], v[8:9], v[42:43], -v[34:35]
	v_mul_f64 v[8:9], v[8:9], v[44:45]
	v_fma_f64 v[100:101], v[12:13], v[42:43], v[8:9]
	global_load_dwordx4 v[34:37], v119, s[8:9] offset:176
	global_load_dwordx4 v[42:45], v119, s[8:9] offset:160
	;; [unrolled: 1-line block ×4, first 2 shown]
	v_mul_f64 v[8:9], v[14:15], v[18:19]
	v_fma_f64 v[8:9], v[10:11], v[16:17], -v[8:9]
	s_waitcnt vmcnt(0) lgkmcnt(3)
	v_mul_f64 v[12:13], v[58:59], v[72:73]
	v_fma_f64 v[117:118], v[30:31], v[70:71], -v[12:13]
	v_mul_f64 v[12:13], v[30:31], v[72:73]
	v_fma_f64 v[58:59], v[58:59], v[70:71], v[12:13]
	v_mul_f64 v[12:13], v[60:61], v[56:57]
	v_add_f64 v[58:59], v[84:85], -v[58:59]
	v_fma_f64 v[70:71], v[32:33], v[54:55], -v[12:13]
	v_mul_f64 v[12:13], v[32:33], v[56:57]
	v_fma_f64 v[54:55], v[60:61], v[54:55], v[12:13]
	s_waitcnt lgkmcnt(2)
	v_mul_f64 v[12:13], v[62:63], v[44:45]
	v_fma_f64 v[56:57], v[26:27], v[42:43], -v[12:13]
	v_mul_f64 v[12:13], v[26:27], v[44:45]
	v_mul_f64 v[26:27], v[28:29], v[36:37]
	v_add_f64 v[56:57], v[80:81], -v[56:57]
	v_fma_f64 v[44:45], v[62:63], v[42:43], v[12:13]
	v_mul_f64 v[12:13], v[64:65], v[36:37]
	v_fma_f64 v[42:43], v[64:65], v[34:35], v[26:27]
	v_add_f64 v[64:65], v[94:95], -v[117:118]
	v_add3_u32 v117, 0, v20, v110
	v_fma_f64 v[12:13], v[28:29], v[34:35], -v[12:13]
	global_load_dwordx4 v[26:29], v119, s[8:9] offset:224
	global_load_dwordx4 v[30:33], v119, s[8:9] offset:208
	;; [unrolled: 1-line block ×3, first 2 shown]
	v_add_f64 v[42:43], v[40:41], -v[42:43]
	s_waitcnt lgkmcnt(0)
	; wave barrier
	s_waitcnt lgkmcnt(0)
	v_add_f64 v[12:13], v[88:89], -v[12:13]
	s_waitcnt vmcnt(0)
	v_mul_f64 v[60:61], v[66:67], v[36:37]
	v_fma_f64 v[60:61], v[22:23], v[34:35], -v[60:61]
	v_mul_f64 v[22:23], v[22:23], v[36:37]
	v_add_f64 v[36:37], v[86:87], -v[70:71]
	v_add_f64 v[70:71], v[90:91], -v[60:61]
	v_fma_f64 v[22:23], v[66:67], v[34:35], v[22:23]
	v_mul_f64 v[34:35], v[68:69], v[32:33]
	v_fma_f64 v[66:67], v[94:95], 2.0, -v[64:65]
	v_fma_f64 v[60:61], v[90:91], 2.0, -v[70:71]
	v_add_f64 v[22:23], v[76:77], -v[22:23]
	v_fma_f64 v[34:35], v[24:25], v[30:31], -v[34:35]
	v_mul_f64 v[24:25], v[24:25], v[32:33]
	v_fma_f64 v[32:33], v[88:89], 2.0, -v[12:13]
	v_add_f64 v[94:95], v[58:59], v[70:71]
	v_add_f64 v[88:89], v[66:67], -v[60:61]
	v_fma_f64 v[72:73], v[76:77], 2.0, -v[22:23]
	v_add_f64 v[34:35], v[78:79], -v[34:35]
	v_fma_f64 v[24:25], v[68:69], v[30:31], v[24:25]
	v_mul_f64 v[30:31], v[92:93], v[28:29]
	v_mul_f64 v[28:29], v[38:39], v[28:29]
	v_add_f64 v[76:77], v[82:83], -v[44:45]
	v_fma_f64 v[68:69], v[84:85], 2.0, -v[58:59]
	v_add_f64 v[22:23], v[64:65], -v[22:23]
	v_fma_f64 v[58:59], v[58:59], 2.0, -v[94:95]
	v_fma_f64 v[90:91], v[66:67], 2.0, -v[88:89]
	v_add_f64 v[24:25], v[96:97], -v[24:25]
	v_fma_f64 v[30:31], v[38:39], v[26:27], -v[30:31]
	v_fma_f64 v[26:27], v[92:93], v[26:27], v[28:29]
	v_add_f64 v[28:29], v[4:5], -v[8:9]
	v_add_f64 v[38:39], v[46:47], -v[54:55]
	v_fma_f64 v[54:55], v[86:87], 2.0, -v[36:37]
	v_add_f64 v[72:73], v[68:69], -v[72:73]
	v_fma_f64 v[92:93], v[64:65], 2.0, -v[22:23]
	v_fma_f64 v[62:63], v[96:97], 2.0, -v[24:25]
	v_add_f64 v[30:31], v[98:99], -v[30:31]
	v_add_f64 v[26:27], v[100:101], -v[26:27]
	v_fma_f64 v[4:5], v[4:5], 2.0, -v[28:29]
	v_fma_f64 v[8:9], v[46:47], 2.0, -v[38:39]
	;; [unrolled: 1-line block ×5, first 2 shown]
	v_add_f64 v[86:87], v[28:29], -v[42:43]
	v_fma_f64 v[82:83], v[98:99], 2.0, -v[30:31]
	v_fma_f64 v[84:85], v[100:101], 2.0, -v[26:27]
	v_add_f64 v[24:25], v[36:37], -v[24:25]
	v_add_f64 v[30:31], v[76:77], v[30:31]
	v_add_f64 v[32:33], v[4:5], -v[32:33]
	v_add_f64 v[46:47], v[54:55], -v[46:47]
	v_add_f64 v[34:35], v[38:39], v[34:35]
	v_add_f64 v[26:27], v[56:57], -v[26:27]
	v_add_f64 v[96:97], v[78:79], -v[82:83]
	;; [unrolled: 1-line block ×3, first 2 shown]
	v_fma_f64 v[36:37], v[36:37], 2.0, -v[24:25]
	v_fma_f64 v[76:77], v[76:77], 2.0, -v[30:31]
	v_mul_f64 v[70:71], v[24:25], s[10:11]
	v_fma_f64 v[24:25], v[24:25], s[10:11], v[86:87]
	v_fma_f64 v[4:5], v[4:5], 2.0, -v[32:33]
	v_fma_f64 v[28:29], v[28:29], 2.0, -v[86:87]
	v_add_f64 v[44:45], v[8:9], -v[62:63]
	v_fma_f64 v[54:55], v[54:55], 2.0, -v[46:47]
	v_fma_f64 v[60:61], v[68:69], 2.0, -v[72:73]
	;; [unrolled: 1-line block ×5, first 2 shown]
	v_fma_f64 v[24:25], v[34:35], s[16:17], v[24:25]
	v_fma_f64 v[82:83], v[76:77], s[16:17], v[58:59]
	v_fma_f64 v[38:39], v[38:39], 2.0, -v[34:35]
	v_add_f64 v[54:55], v[4:5], -v[54:55]
	v_mul_f64 v[64:65], v[36:37], s[10:11]
	v_fma_f64 v[36:37], v[36:37], s[16:17], v[28:29]
	v_mul_f64 v[80:81], v[34:35], s[10:11]
	v_add_f64 v[62:63], v[90:91], -v[62:63]
	v_fma_f64 v[34:35], v[86:87], 2.0, -v[24:25]
	v_add_f64 v[78:79], v[60:61], -v[68:69]
	v_fma_f64 v[68:69], v[56:57], s[16:17], v[92:93]
	v_fma_f64 v[82:83], v[56:57], s[10:11], v[82:83]
	v_add_f64 v[56:57], v[88:89], -v[98:99]
	v_fma_f64 v[86:87], v[26:27], s[10:11], v[22:23]
	v_fma_f64 v[4:5], v[4:5], 2.0, -v[54:55]
	v_fma_f64 v[36:37], v[38:39], s[16:17], v[36:37]
	v_fma_f64 v[100:101], v[90:91], 2.0, -v[62:63]
	v_mul_f64 v[66:67], v[38:39], s[10:11]
	v_fma_f64 v[68:69], v[76:77], s[16:17], v[68:69]
	v_add_f64 v[38:39], v[32:33], -v[44:45]
	v_fma_f64 v[98:99], v[88:89], 2.0, -v[56:57]
	v_fma_f64 v[88:89], v[30:31], s[16:17], v[86:87]
	v_fma_f64 v[90:91], v[30:31], s[10:11], v[94:95]
	v_fma_f64 v[28:29], v[28:29], 2.0, -v[36:37]
	v_fma_f64 v[84:85], v[58:59], 2.0, -v[82:83]
	v_add_f64 v[58:59], v[72:73], v[96:97]
	v_fma_f64 v[76:77], v[92:93], 2.0, -v[68:69]
	v_fma_f64 v[32:33], v[32:33], 2.0, -v[38:39]
	v_add_f64 v[120:121], v[54:55], -v[78:79]
	v_fma_f64 v[86:87], v[22:23], 2.0, -v[88:89]
	v_add_f64 v[22:23], v[4:5], -v[100:101]
	v_fma_f64 v[92:93], v[26:27], s[10:11], v[90:91]
	v_fma_f64 v[72:73], v[72:73], 2.0, -v[58:59]
	v_mul_f64 v[100:101], v[58:59], s[10:11]
	v_fma_f64 v[54:55], v[54:55], 2.0, -v[120:121]
	v_fma_f64 v[26:27], v[4:5], 2.0, -v[22:23]
	v_fma_f64 v[4:5], v[76:77], s[2:3], v[28:29]
	v_fma_f64 v[90:91], v[94:95], 2.0, -v[92:93]
	v_mul_f64 v[96:97], v[72:73], s[10:11]
	v_mul_f64 v[94:95], v[98:99], s[10:11]
	v_fma_f64 v[30:31], v[84:85], s[4:5], v[4:5]
	v_fma_f64 v[4:5], v[98:99], s[16:17], v[32:33]
	v_mul_f64 v[98:99], v[56:57], s[10:11]
	v_fma_f64 v[28:29], v[28:29], 2.0, -v[30:31]
	v_fma_f64 v[72:73], v[72:73], s[16:17], v[4:5]
	v_fma_f64 v[4:5], v[86:87], s[4:5], v[34:35]
	v_fma_f64 v[32:33], v[32:33], 2.0, -v[72:73]
	v_fma_f64 v[118:119], v[90:91], s[2:3], v[4:5]
	v_fma_f64 v[4:5], v[68:69], s[6:7], v[36:37]
	v_fma_f64 v[34:35], v[34:35], 2.0, -v[118:119]
	v_fma_f64 v[122:123], v[82:83], s[2:3], v[4:5]
	v_fma_f64 v[4:5], v[56:57], s[10:11], v[38:39]
	s_mov_b32 s11, 0x3fed906b
	s_mov_b32 s10, s2
	v_fma_f64 v[36:37], v[36:37], 2.0, -v[122:123]
	v_fma_f64 v[56:57], v[58:59], s[16:17], v[4:5]
	v_fma_f64 v[4:5], v[88:89], s[10:11], v[24:25]
	v_fma_f64 v[38:39], v[38:39], 2.0, -v[56:57]
	v_fma_f64 v[4:5], v[92:93], s[4:5], v[4:5]
	v_fma_f64 v[24:25], v[24:25], 2.0, -v[4:5]
	ds_write2_b64 v117, v[26:27], v[28:29] offset1:3
	ds_write2_b64 v117, v[32:33], v[34:35] offset0:6 offset1:9
	ds_write2_b64 v117, v[54:55], v[36:37] offset0:12 offset1:15
	;; [unrolled: 1-line block ×7, first 2 shown]
	s_waitcnt lgkmcnt(0)
	; wave barrier
	s_waitcnt lgkmcnt(0)
	ds_read_b64 v[72:73], v111
	ds_read2_b64 v[36:39], v113 offset0:144 offset1:171
	ds_read2_b64 v[20:23], v53 offset0:124 offset1:160
	ds_read_b64 v[58:59], v112
	ds_read2_b64 v[32:35], v52 offset0:59 offset1:86
	ds_read_b64 v[56:57], v114
	;; [unrolled: 2-line block ×4, first 2 shown]
	s_and_saveexec_b64 s[16:17], vcc
	s_cbranch_execz .LBB0_21
; %bb.20:
	v_add_u32_e32 v4, 0x400, v113
	ds_read2_b64 v[4:7], v4 offset0:7 offset1:151
	ds_read_b64 v[50:51], v113 offset:3384
.LBB0_21:
	s_or_b64 exec, exec, s[16:17]
	v_mul_f64 v[10:11], v[10:11], v[18:19]
	v_fma_f64 v[8:9], v[8:9], 2.0, -v[44:45]
	s_waitcnt lgkmcnt(0)
	; wave barrier
	s_waitcnt lgkmcnt(0)
	v_fma_f64 v[10:11], v[14:15], v[16:17], v[10:11]
	v_fma_f64 v[14:15], v[40:41], 2.0, -v[42:43]
	v_fma_f64 v[42:43], v[60:61], 2.0, -v[78:79]
	v_add_f64 v[10:11], v[0:1], -v[10:11]
	v_add_f64 v[12:13], v[10:11], v[12:13]
	v_fma_f64 v[0:1], v[0:1], 2.0, -v[10:11]
	v_fma_f64 v[10:11], v[10:11], 2.0, -v[12:13]
	v_add_f64 v[14:15], v[0:1], -v[14:15]
	v_add_f64 v[16:17], v[12:13], v[80:81]
	v_add_f64 v[18:19], v[10:11], -v[66:67]
	v_add_f64 v[40:41], v[14:15], v[46:47]
	v_add_f64 v[16:17], v[70:71], v[16:17]
	v_fma_f64 v[0:1], v[0:1], 2.0, -v[14:15]
	v_add_u32_e32 v70, 0x400, v113
	v_add_u32_e32 v71, 0x800, v113
	v_add_f64 v[18:19], v[64:65], v[18:19]
	v_fma_f64 v[14:15], v[14:15], 2.0, -v[40:41]
	v_fma_f64 v[12:13], v[12:13], 2.0, -v[16:17]
	v_add_f64 v[8:9], v[0:1], -v[8:9]
	v_add_f64 v[44:45], v[40:41], v[100:101]
	v_fma_f64 v[46:47], v[92:93], s[10:11], v[16:17]
	v_fma_f64 v[10:11], v[10:11], 2.0, -v[18:19]
	v_add_f64 v[60:61], v[14:15], -v[96:97]
	v_fma_f64 v[64:65], v[90:91], s[4:5], v[12:13]
	v_fma_f64 v[66:67], v[82:83], s[6:7], v[18:19]
	v_fma_f64 v[78:79], v[0:1], 2.0, -v[8:9]
	v_add_f64 v[44:45], v[98:99], v[44:45]
	v_fma_f64 v[0:1], v[88:89], s[6:7], v[46:47]
	v_add_f64 v[46:47], v[8:9], v[62:63]
	v_fma_f64 v[80:81], v[84:85], s[2:3], v[10:11]
	;; [unrolled: 2-line block ×3, first 2 shown]
	v_fma_f64 v[64:65], v[68:69], s[10:11], v[66:67]
	v_add_f64 v[42:43], v[78:79], -v[42:43]
	v_fma_f64 v[40:41], v[40:41], 2.0, -v[44:45]
	v_fma_f64 v[16:17], v[16:17], 2.0, -v[0:1]
	v_fma_f64 v[8:9], v[8:9], 2.0, -v[46:47]
	v_fma_f64 v[66:67], v[76:77], s[6:7], v[80:81]
	v_fma_f64 v[14:15], v[14:15], 2.0, -v[60:61]
	v_fma_f64 v[12:13], v[12:13], 2.0, -v[62:63]
	;; [unrolled: 1-line block ×5, first 2 shown]
	ds_write2_b64 v117, v[44:45], v[0:1] offset0:42 offset1:45
	ds_write2_b64 v117, v[40:41], v[16:17] offset0:18 offset1:21
	;; [unrolled: 1-line block ×7, first 2 shown]
	ds_write2_b64 v117, v[68:69], v[10:11] offset1:3
	s_waitcnt lgkmcnt(0)
	; wave barrier
	s_waitcnt lgkmcnt(0)
	ds_read2_b64 v[44:47], v113 offset0:144 offset1:171
	ds_read2_b64 v[8:11], v70 offset0:124 offset1:160
	;; [unrolled: 1-line block ×4, first 2 shown]
	ds_read_b64 v[68:69], v111
	ds_read_b64 v[66:67], v112
	;; [unrolled: 1-line block ×4, first 2 shown]
	ds_read2_b64 v[12:15], v71 offset0:113 offset1:140
	ds_read_b64 v[60:61], v116
	s_and_saveexec_b64 s[2:3], vcc
	s_cbranch_execz .LBB0_23
; %bb.22:
	ds_read2_b64 v[0:3], v70 offset0:7 offset1:151
	ds_read_b64 v[48:49], v113 offset:3384
.LBB0_23:
	s_or_b64 exec, exec, s[2:3]
	v_lshlrev_b32_e32 v92, 1, v102
	v_mov_b32_e32 v93, 0
	v_lshlrev_b64 v[70:71], 4, v[92:93]
	v_mov_b32_e32 v94, s9
	v_add_co_u32_e64 v76, s[2:3], s8, v70
	v_addc_co_u32_e64 v77, s[2:3], v94, v71, s[2:3]
	global_load_dwordx4 v[80:83], v[76:77], off offset:736
	global_load_dwordx4 v[84:87], v[76:77], off offset:720
	v_cmp_gt_u32_e64 s[2:3], 21, v102
	v_add_u32_e32 v92, 12, v92
	s_mov_b32 s5, 0xbfebb67a
	s_waitcnt vmcnt(0) lgkmcnt(9)
	v_mul_f64 v[70:71], v[44:45], v[86:87]
	v_fma_f64 v[70:71], v[36:37], v[84:85], -v[70:71]
	v_mul_f64 v[36:37], v[36:37], v[86:87]
	v_fma_f64 v[44:45], v[44:45], v[84:85], v[36:37]
	s_waitcnt lgkmcnt(8)
	v_mul_f64 v[36:37], v[10:11], v[82:83]
	v_fma_f64 v[78:79], v[22:23], v[80:81], -v[36:37]
	v_mul_f64 v[22:23], v[22:23], v[82:83]
	v_mov_b32_e32 v37, v93
	v_fma_f64 v[10:11], v[10:11], v[80:81], v[22:23]
	v_subrev_u32_e32 v22, 21, v102
	v_cndmask_b32_e64 v22, v22, v108, s[2:3]
	v_lshlrev_b32_e32 v36, 1, v22
	v_lshlrev_b64 v[36:37], 4, v[36:37]
	v_mov_b32_e32 v80, 5
	v_add_co_u32_e64 v36, s[2:3], s8, v36
	v_addc_co_u32_e64 v37, s[2:3], v94, v37, s[2:3]
	global_load_dwordx4 v[84:87], v[36:37], off offset:736
	global_load_dwordx4 v[88:91], v[36:37], off offset:720
	v_lshlrev_b32_e32 v22, 3, v22
	s_waitcnt vmcnt(0)
	v_mul_f64 v[36:37], v[46:47], v[90:91]
	v_fma_f64 v[82:83], v[38:39], v[88:89], -v[36:37]
	v_mul_f64 v[36:37], v[38:39], v[90:91]
	v_fma_f64 v[38:39], v[46:47], v[88:89], v[36:37]
	s_waitcnt lgkmcnt(7)
	v_mul_f64 v[36:37], v[40:41], v[86:87]
	v_fma_f64 v[46:47], v[32:33], v[84:85], -v[36:37]
	v_lshlrev_b64 v[36:37], 4, v[92:93]
	v_mul_f64 v[32:33], v[32:33], v[86:87]
	v_add_co_u32_e64 v36, s[2:3], s8, v36
	v_addc_co_u32_e64 v37, s[2:3], v94, v37, s[2:3]
	global_load_dwordx4 v[86:89], v[36:37], off offset:736
	global_load_dwordx4 v[90:93], v[36:37], off offset:720
	s_movk_i32 s2, 0xab
	v_mul_lo_u16_sdwa v23, v106, s2 dst_sel:DWORD dst_unused:UNUSED_PAD src0_sel:BYTE_0 src1_sel:DWORD
	v_fma_f64 v[32:33], v[40:41], v[84:85], v[32:33]
	v_lshrrev_b16_e32 v121, 13, v23
	v_mul_lo_u16_e32 v23, 48, v121
	v_sub_u16_e32 v122, v106, v23
	v_lshlrev_b32_sdwa v23, v80, v122 dst_sel:DWORD dst_unused:UNUSED_PAD src0_sel:DWORD src1_sel:BYTE_0
	s_waitcnt vmcnt(0) lgkmcnt(6)
	v_mul_f64 v[36:37], v[16:17], v[92:93]
	v_fma_f64 v[40:41], v[28:29], v[90:91], -v[36:37]
	v_mul_f64 v[28:29], v[28:29], v[92:93]
	v_fma_f64 v[84:85], v[16:17], v[90:91], v[28:29]
	v_mul_f64 v[16:17], v[42:43], v[88:89]
	v_fma_f64 v[28:29], v[34:35], v[86:87], -v[16:17]
	v_mul_f64 v[16:17], v[34:35], v[88:89]
	v_fma_f64 v[16:17], v[42:43], v[86:87], v[16:17]
	global_load_dwordx4 v[34:37], v23, s[8:9] offset:736
	global_load_dwordx4 v[86:89], v23, s[8:9] offset:720
	s_waitcnt vmcnt(0)
	v_mul_f64 v[42:43], v[18:19], v[88:89]
	v_fma_f64 v[42:43], v[30:31], v[86:87], -v[42:43]
	v_mul_f64 v[30:31], v[30:31], v[88:89]
	v_fma_f64 v[18:19], v[18:19], v[86:87], v[30:31]
	s_waitcnt lgkmcnt(1)
	v_mul_f64 v[30:31], v[12:13], v[36:37]
	v_fma_f64 v[30:31], v[24:25], v[34:35], -v[30:31]
	v_mul_f64 v[23:24], v[24:25], v[36:37]
	v_fma_f64 v[12:13], v[12:13], v[34:35], v[23:24]
	v_mul_lo_u16_sdwa v23, v107, s2 dst_sel:DWORD dst_unused:UNUSED_PAD src0_sel:BYTE_0 src1_sel:DWORD
	v_lshrrev_b16_e32 v23, 13, v23
	v_mul_lo_u16_e32 v23, 48, v23
	v_sub_u16_e32 v123, v107, v23
	v_lshlrev_b32_sdwa v23, v80, v123 dst_sel:DWORD dst_unused:UNUSED_PAD src0_sel:DWORD src1_sel:BYTE_0
	global_load_dwordx4 v[34:37], v23, s[8:9] offset:736
	global_load_dwordx4 v[88:91], v23, s[8:9] offset:720
	s_waitcnt vmcnt(0)
	v_mul_f64 v[23:24], v[8:9], v[90:91]
	v_fma_f64 v[86:87], v[20:21], v[88:89], -v[23:24]
	v_mul_f64 v[20:21], v[20:21], v[90:91]
	v_fma_f64 v[20:21], v[8:9], v[88:89], v[20:21]
	v_mul_f64 v[8:9], v[14:15], v[36:37]
	v_fma_f64 v[88:89], v[26:27], v[34:35], -v[8:9]
	v_mul_f64 v[8:9], v[26:27], v[36:37]
	v_fma_f64 v[8:9], v[14:15], v[34:35], v[8:9]
	v_mul_lo_u16_sdwa v14, v105, s2 dst_sel:DWORD dst_unused:UNUSED_PAD src0_sel:BYTE_0 src1_sel:DWORD
	v_lshrrev_b16_e32 v14, 13, v14
	v_mul_lo_u16_e32 v14, 48, v14
	v_sub_u16_e32 v100, v105, v14
	v_lshlrev_b32_sdwa v14, v80, v100 dst_sel:DWORD dst_unused:UNUSED_PAD src0_sel:DWORD src1_sel:BYTE_0
	global_load_dwordx4 v[34:37], v14, s[8:9] offset:736
	global_load_dwordx4 v[23:26], v14, s[8:9] offset:720
	s_mov_b32 s2, 0xe8584caa
	s_mov_b32 s3, 0x3febb67a
	;; [unrolled: 1-line block ×3, first 2 shown]
	s_waitcnt lgkmcnt(0)
	; wave barrier
	s_waitcnt vmcnt(0) lgkmcnt(0)
	v_mul_f64 v[14:15], v[2:3], v[25:26]
	v_fma_f64 v[14:15], v[6:7], v[23:24], -v[14:15]
	v_mul_f64 v[6:7], v[6:7], v[25:26]
	v_fma_f64 v[26:27], v[2:3], v[23:24], v[6:7]
	v_mul_f64 v[2:3], v[48:49], v[36:37]
	v_fma_f64 v[90:91], v[50:51], v[34:35], -v[2:3]
	v_mul_f64 v[2:3], v[50:51], v[36:37]
	v_add_f64 v[50:51], v[38:39], -v[32:33]
	v_fma_f64 v[6:7], v[48:49], v[34:35], v[2:3]
	v_add_f64 v[2:3], v[72:73], v[70:71]
	v_add_f64 v[34:35], v[44:45], -v[10:11]
	v_add_f64 v[117:118], v[26:27], -v[6:7]
	v_add_f64 v[23:24], v[2:3], v[78:79]
	v_add_f64 v[2:3], v[70:71], v[78:79]
	v_fma_f64 v[2:3], v[2:3], -0.5, v[72:73]
	v_add_f64 v[72:73], v[14:15], v[90:91]
	v_fma_f64 v[36:37], v[34:35], s[2:3], v[2:3]
	v_fma_f64 v[34:35], v[34:35], s[4:5], v[2:3]
	v_add_f64 v[2:3], v[58:59], v[82:83]
	v_fma_f64 v[72:73], v[72:73], -0.5, v[4:5]
	ds_write2_b64 v113, v[23:24], v[36:37] offset1:48
	ds_write_b64 v113, v[34:35] offset:768
	v_mov_b32_e32 v23, 0x480
	v_add_f64 v[48:49], v[2:3], v[46:47]
	v_add_f64 v[2:3], v[82:83], v[46:47]
	v_fma_f64 v[2:3], v[2:3], -0.5, v[58:59]
	v_fma_f64 v[58:59], v[50:51], s[2:3], v[2:3]
	v_fma_f64 v[50:51], v[50:51], s[4:5], v[2:3]
	v_add_f64 v[2:3], v[56:57], v[40:41]
	v_add_f64 v[80:81], v[2:3], v[28:29]
	v_add_f64 v[2:3], v[40:41], v[28:29]
	v_fma_f64 v[2:3], v[2:3], -0.5, v[56:57]
	v_add_f64 v[56:57], v[84:85], -v[16:17]
	v_fma_f64 v[92:93], v[56:57], s[2:3], v[2:3]
	v_fma_f64 v[56:57], v[56:57], s[4:5], v[2:3]
	v_add_f64 v[2:3], v[54:55], v[42:43]
	v_add_f64 v[94:95], v[2:3], v[30:31]
	v_add_f64 v[2:3], v[42:43], v[30:31]
	v_fma_f64 v[2:3], v[2:3], -0.5, v[54:55]
	v_add_f64 v[54:55], v[18:19], -v[12:13]
	;; [unrolled: 7-line block ×3, first 2 shown]
	v_fma_f64 v[119:120], v[52:53], s[2:3], v[2:3]
	v_fma_f64 v[52:53], v[52:53], s[4:5], v[2:3]
	v_add_f64 v[2:3], v[4:5], v[14:15]
	v_fma_f64 v[4:5], v[117:118], s[2:3], v[72:73]
	v_fma_f64 v[72:73], v[117:118], s[4:5], v[72:73]
	v_cmp_lt_u32_e64 s[2:3], 20, v102
	v_cndmask_b32_e64 v23, 0, v23, s[2:3]
	v_add_u32_e32 v23, 0, v23
	s_movk_i32 s4, 0x480
	v_add3_u32 v101, v23, v22, v110
	v_add_f64 v[2:3], v[2:3], v[90:91]
	v_mov_b32_e32 v22, 3
	v_mad_u32_u24 v23, v121, s4, 0
	v_lshlrev_b32_sdwa v24, v22, v122 dst_sel:DWORD dst_unused:UNUSED_PAD src0_sel:DWORD src1_sel:BYTE_0
	v_add3_u32 v117, v23, v24, v110
	v_lshlrev_b32_sdwa v23, v22, v123 dst_sel:DWORD dst_unused:UNUSED_PAD src0_sel:DWORD src1_sel:BYTE_0
	v_add3_u32 v118, 0, v23, v110
	v_add_u32_e32 v23, 0x800, v118
	ds_write2_b64 v101, v[48:49], v[58:59] offset1:48
	ds_write_b64 v101, v[50:51] offset:768
	ds_write2_b64 v113, v[80:81], v[92:93] offset0:150 offset1:198
	ds_write_b64 v113, v[56:57] offset:1968
	ds_write2_b64 v117, v[94:95], v[96:97] offset1:48
	ds_write_b64 v117, v[54:55] offset:768
	ds_write2_b64 v23, v[98:99], v[119:120] offset0:32 offset1:80
	ds_write_b64 v118, v[52:53] offset:3072
	s_and_saveexec_b64 s[2:3], vcc
	s_cbranch_execz .LBB0_25
; %bb.24:
	v_lshlrev_b32_sdwa v22, v22, v100 dst_sel:DWORD dst_unused:UNUSED_PAD src0_sel:DWORD src1_sel:BYTE_0
	v_add3_u32 v22, 0, v22, v110
	v_add_u32_e32 v23, 0x800, v22
	ds_write2_b64 v23, v[2:3], v[4:5] offset0:32 offset1:80
	ds_write_b64 v22, v[72:73] offset:3072
.LBB0_25:
	s_or_b64 exec, exec, s[2:3]
	v_add_u32_e32 v121, 0x400, v113
	v_add_u32_e32 v22, 0x800, v113
	s_waitcnt lgkmcnt(0)
	; wave barrier
	s_waitcnt lgkmcnt(0)
	ds_read2_b64 v[52:55], v113 offset0:144 offset1:171
	ds_read2_b64 v[48:51], v121 offset0:124 offset1:160
	;; [unrolled: 1-line block ×4, first 2 shown]
	ds_read_b64 v[80:81], v111
	ds_read_b64 v[92:93], v112
	;; [unrolled: 1-line block ×4, first 2 shown]
	ds_read2_b64 v[22:25], v22 offset0:113 offset1:140
	ds_read_b64 v[98:99], v116
	v_add_u32_e32 v119, 48, v113
	v_add_u32_e32 v120, 0x600, v113
	s_and_saveexec_b64 s[2:3], vcc
	s_cbranch_execz .LBB0_27
; %bb.26:
	ds_read2_b64 v[2:5], v121 offset0:7 offset1:151
	ds_read_b64 v[72:73], v113 offset:3384
.LBB0_27:
	s_or_b64 exec, exec, s[2:3]
	v_add_f64 v[121:122], v[44:45], v[10:11]
	v_add_f64 v[44:45], v[68:69], v[44:45]
	v_add_f64 v[70:71], v[70:71], -v[78:79]
	v_add_f64 v[78:79], v[38:39], v[32:33]
	v_add_f64 v[123:124], v[84:85], v[16:17]
	;; [unrolled: 1-line block ×3, first 2 shown]
	v_add_f64 v[46:47], v[82:83], -v[46:47]
	v_add_f64 v[28:29], v[40:41], -v[28:29]
	v_fma_f64 v[68:69], v[121:122], -0.5, v[68:69]
	v_add_f64 v[10:11], v[44:45], v[10:11]
	s_mov_b32 s2, 0xe8584caa
	v_fma_f64 v[66:67], v[78:79], -0.5, v[66:67]
	v_fma_f64 v[44:45], v[123:124], -0.5, v[64:65]
	s_mov_b32 s3, 0xbfebb67a
	s_mov_b32 s5, 0x3febb67a
	;; [unrolled: 1-line block ×3, first 2 shown]
	v_add_f64 v[82:83], v[64:65], v[84:85]
	v_fma_f64 v[64:65], v[70:71], s[2:3], v[68:69]
	v_fma_f64 v[40:41], v[70:71], s[4:5], v[68:69]
	v_add_f64 v[32:33], v[38:39], v[32:33]
	v_fma_f64 v[38:39], v[46:47], s[2:3], v[66:67]
	v_fma_f64 v[46:47], v[46:47], s[4:5], v[66:67]
	;; [unrolled: 3-line block ×3, first 2 shown]
	v_add_f64 v[44:45], v[26:27], v[6:7]
	v_add_f64 v[68:69], v[18:19], v[12:13]
	v_add_f64 v[30:31], v[42:43], -v[30:31]
	v_add_f64 v[20:21], v[60:61], v[20:21]
	v_add_f64 v[26:27], v[0:1], v[26:27]
	v_fma_f64 v[42:43], v[66:67], -0.5, v[60:61]
	v_add_f64 v[60:61], v[86:87], -v[88:89]
	v_add_f64 v[14:15], v[14:15], -v[90:91]
	v_fma_f64 v[0:1], v[44:45], -0.5, v[0:1]
	v_add_f64 v[18:19], v[62:63], v[18:19]
	v_fma_f64 v[62:63], v[68:69], -0.5, v[62:63]
	v_add_f64 v[20:21], v[20:21], v[8:9]
	v_add_f64 v[6:7], v[26:27], v[6:7]
	;; [unrolled: 1-line block ×3, first 2 shown]
	v_fma_f64 v[44:45], v[60:61], s[2:3], v[42:43]
	v_fma_f64 v[42:43], v[60:61], s[4:5], v[42:43]
	;; [unrolled: 1-line block ×4, first 2 shown]
	v_add_f64 v[12:13], v[18:19], v[12:13]
	v_fma_f64 v[18:19], v[30:31], s[2:3], v[62:63]
	v_fma_f64 v[30:31], v[30:31], s[4:5], v[62:63]
	s_waitcnt lgkmcnt(0)
	; wave barrier
	s_waitcnt lgkmcnt(0)
	ds_write2_b64 v113, v[10:11], v[64:65] offset1:48
	ds_write_b64 v113, v[40:41] offset:768
	ds_write2_b64 v101, v[32:33], v[38:39] offset1:48
	ds_write_b64 v101, v[46:47] offset:768
	ds_write_b64 v120, v[70:71] offset:48
	ds_write2_b64 v119, v[16:17], v[28:29] offset0:144 offset1:240
	ds_write2_b64 v117, v[12:13], v[18:19] offset1:48
	ds_write_b64 v117, v[30:31] offset:768
	v_add_u32_e32 v10, 0x800, v118
	ds_write2_b64 v10, v[20:21], v[44:45] offset0:32 offset1:80
	ds_write_b64 v118, v[42:43] offset:3072
	s_and_saveexec_b64 s[2:3], vcc
	s_cbranch_execz .LBB0_29
; %bb.28:
	v_mov_b32_e32 v10, 3
	v_lshlrev_b32_sdwa v10, v10, v100 dst_sel:DWORD dst_unused:UNUSED_PAD src0_sel:DWORD src1_sel:BYTE_0
	v_add3_u32 v10, 0, v10, v110
	v_add_u32_e32 v11, 0x800, v10
	ds_write2_b64 v11, v[6:7], v[8:9] offset0:32 offset1:80
	ds_write_b64 v10, v[0:1] offset:3072
.LBB0_29:
	s_or_b64 exec, exec, s[2:3]
	v_add_u32_e32 v12, 0x400, v113
	v_add_u32_e32 v10, 0x800, v113
	s_waitcnt lgkmcnt(0)
	; wave barrier
	s_waitcnt lgkmcnt(0)
	ds_read2_b64 v[64:67], v113 offset0:144 offset1:171
	ds_read2_b64 v[60:63], v12 offset0:124 offset1:160
	;; [unrolled: 1-line block ×4, first 2 shown]
	ds_read_b64 v[82:83], v111
	ds_read_b64 v[46:47], v112
	;; [unrolled: 1-line block ×4, first 2 shown]
	ds_read2_b64 v[26:29], v10 offset0:113 offset1:140
	ds_read_b64 v[10:11], v116
	s_and_saveexec_b64 s[2:3], vcc
	s_cbranch_execz .LBB0_31
; %bb.30:
	ds_read2_b64 v[6:9], v12 offset0:7 offset1:151
	ds_read_b64 v[0:1], v113 offset:3384
.LBB0_31:
	s_or_b64 exec, exec, s[2:3]
	s_and_saveexec_b64 s[2:3], s[0:1]
	s_cbranch_execz .LBB0_34
; %bb.32:
	v_lshlrev_b32_e32 v78, 1, v107
	v_mov_b32_e32 v79, 0
	v_lshlrev_b64 v[12:13], 4, v[78:79]
	v_mov_b32_e32 v100, s9
	v_add_co_u32_e64 v20, s[0:1], s8, v12
	v_addc_co_u32_e64 v21, s[0:1], v100, v13, s[0:1]
	global_load_dwordx4 v[12:15], v[20:21], off offset:2272
	global_load_dwordx4 v[16:19], v[20:21], off offset:2256
	s_mov_b32 s2, 0xe8584caa
	s_mov_b32 s3, 0x3febb67a
	;; [unrolled: 1-line block ×4, first 2 shown]
	v_lshlrev_b32_e32 v78, 1, v106
	s_movk_i32 s6, 0x120
	s_waitcnt vmcnt(0) lgkmcnt(8)
	v_mul_f64 v[20:21], v[60:61], v[18:19]
	v_mul_f64 v[18:19], v[48:49], v[18:19]
	v_fma_f64 v[32:33], v[48:49], v[16:17], -v[20:21]
	s_waitcnt lgkmcnt(1)
	v_mul_f64 v[20:21], v[28:29], v[14:15]
	v_mul_f64 v[14:15], v[24:25], v[14:15]
	v_fma_f64 v[18:19], v[60:61], v[16:17], v[18:19]
	v_fma_f64 v[44:45], v[24:25], v[12:13], -v[20:21]
	v_fma_f64 v[14:15], v[28:29], v[12:13], v[14:15]
	v_add_f64 v[20:21], v[32:33], -v[44:45]
	v_add_f64 v[12:13], v[18:19], v[14:15]
	s_waitcnt lgkmcnt(0)
	v_fma_f64 v[16:17], v[12:13], -0.5, v[10:11]
	v_add_f64 v[10:11], v[10:11], v[18:19]
	v_fma_f64 v[12:13], v[20:21], s[2:3], v[16:17]
	v_fma_f64 v[16:17], v[20:21], s[4:5], v[16:17]
	v_add_f64 v[20:21], v[10:11], v[14:15]
	v_add_f64 v[10:11], v[32:33], v[44:45]
	v_add_f64 v[14:15], v[18:19], -v[14:15]
	v_add_f64 v[18:19], v[98:99], v[32:33]
	v_fma_f64 v[24:25], v[10:11], -0.5, v[98:99]
	v_add_f64 v[18:19], v[18:19], v[44:45]
	v_fma_f64 v[10:11], v[14:15], s[4:5], v[24:25]
	v_fma_f64 v[14:15], v[14:15], s[2:3], v[24:25]
	v_lshlrev_b64 v[24:25], 4, v[78:79]
	v_lshlrev_b32_e32 v78, 1, v109
	v_add_co_u32_e64 v24, s[0:1], s8, v24
	v_addc_co_u32_e64 v25, s[0:1], v100, v25, s[0:1]
	global_load_dwordx4 v[84:87], v[24:25], off offset:2272
	global_load_dwordx4 v[88:91], v[24:25], off offset:2256
	s_waitcnt vmcnt(0)
	v_mul_f64 v[24:25], v[40:41], v[90:91]
	v_fma_f64 v[44:45], v[36:37], v[88:89], -v[24:25]
	v_mul_f64 v[24:25], v[26:27], v[86:87]
	v_fma_f64 v[48:49], v[22:23], v[84:85], -v[24:25]
	v_mul_f64 v[24:25], v[36:37], v[90:91]
	v_mul_f64 v[22:23], v[22:23], v[86:87]
	v_add_f64 v[28:29], v[44:45], -v[48:49]
	v_fma_f64 v[36:37], v[40:41], v[88:89], v[24:25]
	v_fma_f64 v[22:23], v[26:27], v[84:85], v[22:23]
	v_add_f64 v[24:25], v[36:37], v[22:23]
	v_fma_f64 v[26:27], v[24:25], -0.5, v[30:31]
	v_fma_f64 v[24:25], v[28:29], s[2:3], v[26:27]
	v_fma_f64 v[28:29], v[28:29], s[4:5], v[26:27]
	v_add_f64 v[26:27], v[30:31], v[36:37]
	v_add_f64 v[30:31], v[36:37], -v[22:23]
	v_lshlrev_b64 v[36:37], 4, v[78:79]
	v_lshlrev_b32_e32 v78, 1, v108
	v_add_co_u32_e64 v36, s[0:1], s8, v36
	v_addc_co_u32_e64 v37, s[0:1], v100, v37, s[0:1]
	global_load_dwordx4 v[84:87], v[36:37], off offset:2272
	global_load_dwordx4 v[88:91], v[36:37], off offset:2256
	v_add_f64 v[32:33], v[26:27], v[22:23]
	v_add_f64 v[26:27], v[44:45], v[48:49]
	v_fma_f64 v[26:27], v[26:27], -0.5, v[96:97]
	v_fma_f64 v[22:23], v[30:31], s[4:5], v[26:27]
	v_fma_f64 v[26:27], v[30:31], s[2:3], v[26:27]
	v_add_f64 v[30:31], v[96:97], v[44:45]
	v_add_f64 v[30:31], v[30:31], v[48:49]
	s_waitcnt vmcnt(0)
	v_mul_f64 v[36:37], v[38:39], v[90:91]
	v_fma_f64 v[48:49], v[34:35], v[88:89], -v[36:37]
	v_mul_f64 v[36:37], v[70:71], v[86:87]
	v_mul_f64 v[34:35], v[34:35], v[90:91]
	v_fma_f64 v[60:61], v[58:59], v[84:85], -v[36:37]
	v_mul_f64 v[36:37], v[58:59], v[86:87]
	v_fma_f64 v[34:35], v[38:39], v[88:89], v[34:35]
	v_add_f64 v[40:41], v[48:49], -v[60:61]
	v_fma_f64 v[38:39], v[70:71], v[84:85], v[36:37]
	v_add_f64 v[36:37], v[34:35], v[38:39]
	v_fma_f64 v[44:45], v[36:37], -0.5, v[42:43]
	v_add_f64 v[42:43], v[42:43], v[34:35]
	v_fma_f64 v[36:37], v[40:41], s[2:3], v[44:45]
	v_fma_f64 v[40:41], v[40:41], s[4:5], v[44:45]
	v_add_f64 v[44:45], v[42:43], v[38:39]
	v_add_f64 v[42:43], v[48:49], v[60:61]
	v_add_f64 v[38:39], v[34:35], -v[38:39]
	v_fma_f64 v[42:43], v[42:43], -0.5, v[94:95]
	v_fma_f64 v[34:35], v[38:39], s[4:5], v[42:43]
	v_fma_f64 v[38:39], v[38:39], s[2:3], v[42:43]
	v_add_f64 v[42:43], v[94:95], v[48:49]
	v_lshlrev_b64 v[48:49], 4, v[78:79]
	v_add_co_u32_e64 v48, s[0:1], s8, v48
	v_addc_co_u32_e64 v49, s[0:1], v100, v49, s[0:1]
	v_add_f64 v[42:43], v[42:43], v[60:61]
	global_load_dwordx4 v[58:61], v[48:49], off offset:2272
	global_load_dwordx4 v[84:87], v[48:49], off offset:2256
	s_waitcnt vmcnt(0)
	v_mul_f64 v[48:49], v[66:67], v[86:87]
	v_fma_f64 v[70:71], v[54:55], v[84:85], -v[48:49]
	v_mul_f64 v[48:49], v[68:69], v[60:61]
	v_fma_f64 v[88:89], v[56:57], v[58:59], -v[48:49]
	v_mul_f64 v[48:49], v[54:55], v[86:87]
	v_add_f64 v[90:91], v[70:71], -v[88:89]
	v_fma_f64 v[54:55], v[66:67], v[84:85], v[48:49]
	v_mul_f64 v[48:49], v[56:57], v[60:61]
	v_fma_f64 v[58:59], v[68:69], v[58:59], v[48:49]
	v_add_f64 v[48:49], v[54:55], v[58:59]
	v_fma_f64 v[56:57], v[48:49], -0.5, v[46:47]
	v_add_f64 v[46:47], v[46:47], v[54:55]
	v_add_f64 v[54:55], v[54:55], -v[58:59]
	v_fma_f64 v[48:49], v[90:91], s[2:3], v[56:57]
	v_add_f64 v[60:61], v[46:47], v[58:59]
	v_add_f64 v[46:47], v[70:71], v[88:89]
	;; [unrolled: 1-line block ×3, first 2 shown]
	v_fma_f64 v[56:57], v[90:91], s[4:5], v[56:57]
	v_fma_f64 v[66:67], v[46:47], -0.5, v[92:93]
	v_add_f64 v[58:59], v[58:59], v[88:89]
	v_fma_f64 v[46:47], v[54:55], s[4:5], v[66:67]
	v_fma_f64 v[54:55], v[54:55], s[2:3], v[66:67]
	global_load_dwordx4 v[66:69], v[76:77], off offset:2272
	global_load_dwordx4 v[84:87], v[76:77], off offset:2256
	s_waitcnt vmcnt(1)
	v_mul_f64 v[76:77], v[62:63], v[68:69]
	s_waitcnt vmcnt(0)
	v_mul_f64 v[70:71], v[64:65], v[86:87]
	v_fma_f64 v[76:77], v[50:51], v[66:67], -v[76:77]
	v_fma_f64 v[70:71], v[52:53], v[84:85], -v[70:71]
	v_mul_f64 v[52:53], v[52:53], v[86:87]
	v_mul_f64 v[50:51], v[50:51], v[68:69]
	v_add_f64 v[88:89], v[70:71], -v[76:77]
	v_fma_f64 v[52:53], v[64:65], v[84:85], v[52:53]
	v_fma_f64 v[50:51], v[62:63], v[66:67], v[50:51]
	v_add_f64 v[62:63], v[52:53], v[50:51]
	v_fma_f64 v[62:63], v[62:63], -0.5, v[82:83]
	v_fma_f64 v[64:65], v[88:89], s[2:3], v[62:63]
	v_fma_f64 v[68:69], v[88:89], s[4:5], v[62:63]
	v_add_f64 v[62:63], v[82:83], v[52:53]
	v_add_f64 v[82:83], v[62:63], v[50:51]
	;; [unrolled: 1-line block ×3, first 2 shown]
	v_add_f64 v[50:51], v[52:53], -v[50:51]
	v_mad_u64_u32 v[52:53], s[0:1], s12, v102, 0
	v_fma_f64 v[66:67], v[62:63], -0.5, v[80:81]
	v_fma_f64 v[62:63], v[50:51], s[4:5], v[66:67]
	v_fma_f64 v[66:67], v[50:51], s[2:3], v[66:67]
	v_add_f64 v[50:51], v[80:81], v[70:71]
	v_add_u32_e32 v70, 0x90, v102
	v_add_f64 v[80:81], v[50:51], v[76:77]
	v_mov_b32_e32 v50, v53
	v_mad_u64_u32 v[50:51], s[0:1], s13, v102, v[50:51]
	v_mov_b32_e32 v51, s15
	v_mov_b32_e32 v53, v50
	v_add_co_u32_e64 v50, s[0:1], s14, v74
	v_lshlrev_b64 v[52:53], 4, v[52:53]
	v_addc_co_u32_e64 v51, s[0:1], v51, v75, s[0:1]
	v_add_co_u32_e64 v52, s[0:1], v50, v52
	v_addc_co_u32_e64 v53, s[0:1], v51, v53, s[0:1]
	global_store_dwordx4 v[52:53], v[80:83], off
	v_mad_u64_u32 v[52:53], s[0:1], s12, v70, 0
	v_mad_u64_u32 v[70:71], s[0:1], s13, v70, v[53:54]
	v_mov_b32_e32 v53, v70
	v_lshlrev_b64 v[52:53], 4, v[52:53]
	v_add_co_u32_e64 v52, s[0:1], v50, v52
	v_addc_co_u32_e64 v53, s[0:1], v51, v53, s[0:1]
	global_store_dwordx4 v[52:53], v[66:69], off
	s_nop 0
	v_or_b32_e32 v66, 0x120, v102
	v_mad_u64_u32 v[52:53], s[0:1], s12, v66, 0
	v_mad_u64_u32 v[66:67], s[0:1], s13, v66, v[53:54]
	v_mov_b32_e32 v53, v66
	v_lshlrev_b64 v[52:53], 4, v[52:53]
	v_add_co_u32_e64 v52, s[0:1], v50, v52
	v_addc_co_u32_e64 v53, s[0:1], v51, v53, s[0:1]
	global_store_dwordx4 v[52:53], v[62:65], off
	v_mad_u64_u32 v[52:53], s[0:1], s12, v104, 0
	v_mad_u64_u32 v[62:63], s[0:1], s13, v104, v[53:54]
	v_mov_b32_e32 v53, v62
	v_lshlrev_b64 v[52:53], 4, v[52:53]
	v_add_co_u32_e64 v52, s[0:1], v50, v52
	v_addc_co_u32_e64 v53, s[0:1], v51, v53, s[0:1]
	global_store_dwordx4 v[52:53], v[58:61], off
	s_nop 0
	v_add_u32_e32 v58, 0xab, v102
	v_mad_u64_u32 v[52:53], s[0:1], s12, v58, 0
	v_mad_u64_u32 v[58:59], s[0:1], s13, v58, v[53:54]
	v_mov_b32_e32 v53, v58
	v_lshlrev_b64 v[52:53], 4, v[52:53]
	v_add_co_u32_e64 v52, s[0:1], v50, v52
	v_addc_co_u32_e64 v53, s[0:1], v51, v53, s[0:1]
	global_store_dwordx4 v[52:53], v[54:57], off
	s_nop 0
	v_add_u32_e32 v54, 0x13b, v102
	v_mad_u64_u32 v[52:53], s[0:1], s12, v54, 0
	v_mad_u64_u32 v[53:54], s[0:1], s13, v54, v[53:54]
	v_lshlrev_b64 v[52:53], 4, v[52:53]
	v_add_co_u32_e64 v52, s[0:1], v50, v52
	v_addc_co_u32_e64 v53, s[0:1], v51, v53, s[0:1]
	global_store_dwordx4 v[52:53], v[46:49], off
	s_nop 0
	v_mad_u64_u32 v[46:47], s[0:1], s12, v103, 0
	v_mad_u64_u32 v[47:48], s[0:1], s13, v103, v[47:48]
	v_lshlrev_b64 v[46:47], 4, v[46:47]
	v_add_co_u32_e64 v46, s[0:1], v50, v46
	v_addc_co_u32_e64 v47, s[0:1], v51, v47, s[0:1]
	global_store_dwordx4 v[46:47], v[42:45], off
	s_nop 0
	v_add_u32_e32 v44, 0xc6, v102
	v_mad_u64_u32 v[42:43], s[0:1], s12, v44, 0
	v_mad_u64_u32 v[43:44], s[0:1], s13, v44, v[43:44]
	v_lshlrev_b64 v[42:43], 4, v[42:43]
	v_add_co_u32_e64 v42, s[0:1], v50, v42
	v_addc_co_u32_e64 v43, s[0:1], v51, v43, s[0:1]
	global_store_dwordx4 v[42:43], v[38:41], off
	s_nop 0
	v_add_u32_e32 v40, 0x156, v102
	;; [unrolled: 8-line block ×5, first 2 shown]
	v_mad_u64_u32 v[26:27], s[0:1], s12, v28, 0
	v_mad_u64_u32 v[27:28], s[0:1], s13, v28, v[27:28]
	v_lshlrev_b64 v[26:27], 4, v[26:27]
	v_add_co_u32_e64 v26, s[0:1], v50, v26
	v_addc_co_u32_e64 v27, s[0:1], v51, v27, s[0:1]
	global_store_dwordx4 v[26:27], v[22:25], off
	s_mov_b32 s0, 0x38e38e39
	v_add_u32_e32 v22, 0x6c, v102
	v_mul_hi_u32 v23, v22, s0
	v_lshrrev_b32_e32 v23, 5, v23
	v_mad_u32_u24 v25, v23, s6, v22
	v_mad_u64_u32 v[22:23], s[0:1], s12, v25, 0
	v_mad_u64_u32 v[23:24], s[0:1], s13, v25, v[23:24]
	v_lshlrev_b64 v[22:23], 4, v[22:23]
	v_add_co_u32_e64 v22, s[0:1], v50, v22
	v_addc_co_u32_e64 v23, s[0:1], v51, v23, s[0:1]
	global_store_dwordx4 v[22:23], v[18:21], off
	s_nop 0
	v_add_u32_e32 v20, 0x90, v25
	v_mad_u64_u32 v[18:19], s[0:1], s12, v20, 0
	v_mad_u64_u32 v[19:20], s[0:1], s13, v20, v[19:20]
	v_lshlrev_b64 v[18:19], 4, v[18:19]
	v_add_co_u32_e64 v18, s[0:1], v50, v18
	v_addc_co_u32_e64 v19, s[0:1], v51, v19, s[0:1]
	global_store_dwordx4 v[18:19], v[14:17], off
	s_nop 0
	v_add_u32_e32 v16, 0x120, v25
	v_mad_u64_u32 v[14:15], s[0:1], s12, v16, 0
	v_mad_u64_u32 v[15:16], s[0:1], s13, v16, v[15:16]
	v_lshlrev_b64 v[14:15], 4, v[14:15]
	v_add_co_u32_e64 v14, s[0:1], v50, v14
	v_addc_co_u32_e64 v15, s[0:1], v51, v15, s[0:1]
	global_store_dwordx4 v[14:15], v[10:13], off
	s_and_b64 exec, exec, vcc
	s_cbranch_execz .LBB0_34
; %bb.33:
	v_add_u32_e32 v10, -9, v102
	v_cndmask_b32_e32 v10, v10, v105, vcc
	v_lshlrev_b32_e32 v78, 1, v10
	v_lshlrev_b64 v[10:11], 4, v[78:79]
	v_mov_b32_e32 v12, s9
	v_add_co_u32_e32 v18, vcc, s8, v10
	v_addc_co_u32_e32 v19, vcc, v12, v11, vcc
	global_load_dwordx4 v[10:13], v[18:19], off offset:2256
	global_load_dwordx4 v[14:17], v[18:19], off offset:2272
	v_add_u32_e32 v29, 0x117, v102
	v_mad_u64_u32 v[18:19], s[0:1], s12, v105, 0
	v_mad_u64_u32 v[20:21], s[0:1], s12, v29, 0
	v_add_u32_e32 v31, 0x1a7, v102
	v_mad_u64_u32 v[22:23], s[0:1], s12, v31, 0
	v_mad_u64_u32 v[24:25], s[0:1], s13, v105, v[19:20]
	v_mov_b32_e32 v19, v21
	v_mov_b32_e32 v21, v23
	v_mad_u64_u32 v[29:30], s[0:1], s13, v29, v[19:20]
	v_mov_b32_e32 v19, v24
	s_waitcnt vmcnt(1)
	v_mul_f64 v[25:26], v[8:9], v[12:13]
	v_mul_f64 v[12:13], v[4:5], v[12:13]
	s_waitcnt vmcnt(0)
	v_mul_f64 v[27:28], v[0:1], v[16:17]
	v_mul_f64 v[16:17], v[72:73], v[16:17]
	v_fma_f64 v[4:5], v[4:5], v[10:11], -v[25:26]
	v_fma_f64 v[8:9], v[8:9], v[10:11], v[12:13]
	v_fma_f64 v[10:11], v[72:73], v[14:15], -v[27:28]
	v_fma_f64 v[12:13], v[0:1], v[14:15], v[16:17]
	v_mad_u64_u32 v[0:1], s[0:1], s13, v31, v[21:22]
	v_mov_b32_e32 v21, v29
	v_lshlrev_b64 v[14:15], 4, v[18:19]
	v_mov_b32_e32 v23, v0
	v_lshlrev_b64 v[18:19], 4, v[20:21]
	v_add_f64 v[0:1], v[4:5], v[10:11]
	v_add_f64 v[16:17], v[8:9], v[12:13]
	v_lshlrev_b64 v[20:21], 4, v[22:23]
	v_add_f64 v[22:23], v[2:3], v[4:5]
	v_add_f64 v[24:25], v[8:9], -v[12:13]
	v_add_f64 v[8:9], v[6:7], v[8:9]
	v_add_f64 v[26:27], v[4:5], -v[10:11]
	v_add_co_u32_e32 v14, vcc, v50, v14
	v_fma_f64 v[28:29], v[0:1], -0.5, v[2:3]
	v_fma_f64 v[16:17], v[16:17], -0.5, v[6:7]
	v_add_f64 v[0:1], v[22:23], v[10:11]
	v_addc_co_u32_e32 v15, vcc, v51, v15, vcc
	v_add_f64 v[2:3], v[8:9], v[12:13]
	v_add_co_u32_e32 v12, vcc, v50, v18
	v_fma_f64 v[4:5], v[24:25], s[2:3], v[28:29]
	v_fma_f64 v[6:7], v[26:27], s[4:5], v[16:17]
	;; [unrolled: 1-line block ×4, first 2 shown]
	v_addc_co_u32_e32 v13, vcc, v51, v19, vcc
	v_add_co_u32_e32 v16, vcc, v50, v20
	v_addc_co_u32_e32 v17, vcc, v51, v21, vcc
	global_store_dwordx4 v[14:15], v[0:3], off
	global_store_dwordx4 v[12:13], v[4:7], off
	;; [unrolled: 1-line block ×3, first 2 shown]
.LBB0_34:
	s_endpgm
	.section	.rodata,"a",@progbits
	.p2align	6, 0x0
	.amdhsa_kernel fft_rtc_fwd_len432_factors_3_16_3_3_wgs_54_tpt_27_halfLds_dp_ip_CI_sbrr_dirReg
		.amdhsa_group_segment_fixed_size 0
		.amdhsa_private_segment_fixed_size 0
		.amdhsa_kernarg_size 88
		.amdhsa_user_sgpr_count 6
		.amdhsa_user_sgpr_private_segment_buffer 1
		.amdhsa_user_sgpr_dispatch_ptr 0
		.amdhsa_user_sgpr_queue_ptr 0
		.amdhsa_user_sgpr_kernarg_segment_ptr 1
		.amdhsa_user_sgpr_dispatch_id 0
		.amdhsa_user_sgpr_flat_scratch_init 0
		.amdhsa_user_sgpr_private_segment_size 0
		.amdhsa_uses_dynamic_stack 0
		.amdhsa_system_sgpr_private_segment_wavefront_offset 0
		.amdhsa_system_sgpr_workgroup_id_x 1
		.amdhsa_system_sgpr_workgroup_id_y 0
		.amdhsa_system_sgpr_workgroup_id_z 0
		.amdhsa_system_sgpr_workgroup_info 0
		.amdhsa_system_vgpr_workitem_id 0
		.amdhsa_next_free_vgpr 125
		.amdhsa_next_free_sgpr 24
		.amdhsa_reserve_vcc 1
		.amdhsa_reserve_flat_scratch 0
		.amdhsa_float_round_mode_32 0
		.amdhsa_float_round_mode_16_64 0
		.amdhsa_float_denorm_mode_32 3
		.amdhsa_float_denorm_mode_16_64 3
		.amdhsa_dx10_clamp 1
		.amdhsa_ieee_mode 1
		.amdhsa_fp16_overflow 0
		.amdhsa_exception_fp_ieee_invalid_op 0
		.amdhsa_exception_fp_denorm_src 0
		.amdhsa_exception_fp_ieee_div_zero 0
		.amdhsa_exception_fp_ieee_overflow 0
		.amdhsa_exception_fp_ieee_underflow 0
		.amdhsa_exception_fp_ieee_inexact 0
		.amdhsa_exception_int_div_zero 0
	.end_amdhsa_kernel
	.text
.Lfunc_end0:
	.size	fft_rtc_fwd_len432_factors_3_16_3_3_wgs_54_tpt_27_halfLds_dp_ip_CI_sbrr_dirReg, .Lfunc_end0-fft_rtc_fwd_len432_factors_3_16_3_3_wgs_54_tpt_27_halfLds_dp_ip_CI_sbrr_dirReg
                                        ; -- End function
	.section	.AMDGPU.csdata,"",@progbits
; Kernel info:
; codeLenInByte = 10568
; NumSgprs: 28
; NumVgprs: 125
; ScratchSize: 0
; MemoryBound: 1
; FloatMode: 240
; IeeeMode: 1
; LDSByteSize: 0 bytes/workgroup (compile time only)
; SGPRBlocks: 3
; VGPRBlocks: 31
; NumSGPRsForWavesPerEU: 28
; NumVGPRsForWavesPerEU: 125
; Occupancy: 2
; WaveLimiterHint : 1
; COMPUTE_PGM_RSRC2:SCRATCH_EN: 0
; COMPUTE_PGM_RSRC2:USER_SGPR: 6
; COMPUTE_PGM_RSRC2:TRAP_HANDLER: 0
; COMPUTE_PGM_RSRC2:TGID_X_EN: 1
; COMPUTE_PGM_RSRC2:TGID_Y_EN: 0
; COMPUTE_PGM_RSRC2:TGID_Z_EN: 0
; COMPUTE_PGM_RSRC2:TIDIG_COMP_CNT: 0
	.type	__hip_cuid_a9aecd784df4bfa,@object ; @__hip_cuid_a9aecd784df4bfa
	.section	.bss,"aw",@nobits
	.globl	__hip_cuid_a9aecd784df4bfa
__hip_cuid_a9aecd784df4bfa:
	.byte	0                               ; 0x0
	.size	__hip_cuid_a9aecd784df4bfa, 1

	.ident	"AMD clang version 19.0.0git (https://github.com/RadeonOpenCompute/llvm-project roc-6.4.0 25133 c7fe45cf4b819c5991fe208aaa96edf142730f1d)"
	.section	".note.GNU-stack","",@progbits
	.addrsig
	.addrsig_sym __hip_cuid_a9aecd784df4bfa
	.amdgpu_metadata
---
amdhsa.kernels:
  - .args:
      - .actual_access:  read_only
        .address_space:  global
        .offset:         0
        .size:           8
        .value_kind:     global_buffer
      - .offset:         8
        .size:           8
        .value_kind:     by_value
      - .actual_access:  read_only
        .address_space:  global
        .offset:         16
        .size:           8
        .value_kind:     global_buffer
      - .actual_access:  read_only
        .address_space:  global
        .offset:         24
        .size:           8
        .value_kind:     global_buffer
      - .offset:         32
        .size:           8
        .value_kind:     by_value
      - .actual_access:  read_only
        .address_space:  global
        .offset:         40
        .size:           8
        .value_kind:     global_buffer
      - .actual_access:  read_only
        .address_space:  global
        .offset:         48
        .size:           8
        .value_kind:     global_buffer
      - .offset:         56
        .size:           4
        .value_kind:     by_value
      - .actual_access:  read_only
        .address_space:  global
        .offset:         64
        .size:           8
        .value_kind:     global_buffer
      - .actual_access:  read_only
        .address_space:  global
        .offset:         72
        .size:           8
        .value_kind:     global_buffer
      - .address_space:  global
        .offset:         80
        .size:           8
        .value_kind:     global_buffer
    .group_segment_fixed_size: 0
    .kernarg_segment_align: 8
    .kernarg_segment_size: 88
    .language:       OpenCL C
    .language_version:
      - 2
      - 0
    .max_flat_workgroup_size: 54
    .name:           fft_rtc_fwd_len432_factors_3_16_3_3_wgs_54_tpt_27_halfLds_dp_ip_CI_sbrr_dirReg
    .private_segment_fixed_size: 0
    .sgpr_count:     28
    .sgpr_spill_count: 0
    .symbol:         fft_rtc_fwd_len432_factors_3_16_3_3_wgs_54_tpt_27_halfLds_dp_ip_CI_sbrr_dirReg.kd
    .uniform_work_group_size: 1
    .uses_dynamic_stack: false
    .vgpr_count:     125
    .vgpr_spill_count: 0
    .wavefront_size: 64
amdhsa.target:   amdgcn-amd-amdhsa--gfx906
amdhsa.version:
  - 1
  - 2
...

	.end_amdgpu_metadata
